;; amdgpu-corpus repo=ROCm/rocFFT kind=compiled arch=gfx906 opt=O3
	.text
	.amdgcn_target "amdgcn-amd-amdhsa--gfx906"
	.amdhsa_code_object_version 6
	.protected	bluestein_single_back_len1440_dim1_dp_op_CI_CI ; -- Begin function bluestein_single_back_len1440_dim1_dp_op_CI_CI
	.globl	bluestein_single_back_len1440_dim1_dp_op_CI_CI
	.p2align	8
	.type	bluestein_single_back_len1440_dim1_dp_op_CI_CI,@function
bluestein_single_back_len1440_dim1_dp_op_CI_CI: ; @bluestein_single_back_len1440_dim1_dp_op_CI_CI
; %bb.0:
	s_load_dwordx4 s[8:11], s[4:5], 0x28
	s_mov_b64 s[30:31], s[2:3]
	v_mul_u32_u24_e32 v1, 0x2d9, v0
	v_mov_b32_e32 v8, 0
	s_mov_b64 s[28:29], s[0:1]
	v_add_u32_sdwa v4, s6, v1 dst_sel:DWORD dst_unused:UNUSED_PAD src0_sel:DWORD src1_sel:WORD_1
	v_mov_b32_e32 v5, v8
	s_add_u32 s28, s28, s7
	s_waitcnt lgkmcnt(0)
	v_cmp_gt_u64_e32 vcc, s[8:9], v[4:5]
	s_addc_u32 s29, s29, 0
	s_and_saveexec_b64 s[0:1], vcc
	s_cbranch_execz .LBB0_31
; %bb.1:
	s_load_dwordx4 s[0:3], s[4:5], 0x18
	v_mov_b32_e32 v5, v4
	s_waitcnt lgkmcnt(0)
	s_load_dwordx4 s[12:15], s[0:1], 0x0
	s_movk_i32 s0, 0x5a
	v_mul_lo_u16_sdwa v1, v1, s0 dst_sel:DWORD dst_unused:UNUSED_PAD src0_sel:WORD_1 src1_sel:DWORD
	v_sub_u16_e32 v7, v0, v1
	buffer_store_dword v5, off, s[28:31], 0 offset:8 ; 4-byte Folded Spill
	s_nop 0
	buffer_store_dword v6, off, s[28:31], 0 offset:12 ; 4-byte Folded Spill
	s_waitcnt lgkmcnt(0)
	v_mad_u64_u32 v[0:1], s[0:1], s14, v4, 0
	v_mad_u64_u32 v[2:3], s[0:1], s12, v7, 0
	v_lshlrev_b32_e32 v22, 4, v7
	v_mov_b32_e32 v65, v8
	v_mad_u64_u32 v[4:5], s[0:1], s15, v4, v[1:2]
	s_load_dwordx2 s[14:15], s[4:5], 0x0
	v_mov_b32_e32 v64, v7
	v_mad_u64_u32 v[5:6], s[0:1], s13, v7, v[3:4]
	v_mov_b32_e32 v1, v4
	v_lshlrev_b64 v[0:1], 4, v[0:1]
	v_mov_b32_e32 v6, s11
	v_mov_b32_e32 v3, v5
	v_add_co_u32_e32 v23, vcc, s10, v0
	v_addc_co_u32_e32 v48, vcc, v6, v1, vcc
	v_lshlrev_b64 v[0:1], 4, v[2:3]
	s_mul_i32 s0, s13, 0x90
	v_add_co_u32_e32 v0, vcc, v23, v0
	v_addc_co_u32_e32 v1, vcc, v48, v1, vcc
	s_mul_hi_u32 s1, s12, 0x90
	s_waitcnt lgkmcnt(0)
	v_mov_b32_e32 v2, s15
	v_add_co_u32_e32 v20, vcc, s14, v22
	s_add_i32 s1, s1, s0
	s_mul_i32 s0, s12, 0x90
	v_addc_co_u32_e32 v21, vcc, 0, v2, vcc
	s_lshl_b64 s[16:17], s[0:1], 4
	v_mov_b32_e32 v18, s17
	v_add_co_u32_e32 v2, vcc, s16, v0
	v_addc_co_u32_e32 v3, vcc, v1, v18, vcc
	global_load_dwordx4 v[10:13], v[0:1], off
	global_load_dwordx4 v[14:17], v[2:3], off
	global_load_dwordx4 v[94:97], v22, s[14:15]
	global_load_dwordx4 v[78:81], v22, s[14:15] offset:2304
	v_add_co_u32_e32 v2, vcc, s16, v2
	v_addc_co_u32_e32 v3, vcc, v3, v18, vcc
	s_movk_i32 s0, 0x1000
	v_add_co_u32_e32 v0, vcc, s0, v20
	v_addc_co_u32_e32 v1, vcc, 0, v21, vcc
	global_load_dwordx4 v[24:27], v[2:3], off
	v_add_co_u32_e32 v2, vcc, s16, v2
	v_addc_co_u32_e32 v3, vcc, v3, v18, vcc
	v_add_co_u32_e32 v4, vcc, s16, v2
	v_addc_co_u32_e32 v5, vcc, v3, v18, vcc
	s_movk_i32 s0, 0x2000
	global_load_dwordx4 v[82:85], v[0:1], off offset:512
	global_load_dwordx4 v[66:69], v[0:1], off offset:2816
	global_load_dwordx4 v[28:31], v[2:3], off
	global_load_dwordx4 v[32:35], v[4:5], off
	v_add_co_u32_e32 v2, vcc, s0, v20
	v_addc_co_u32_e32 v3, vcc, 0, v21, vcc
	v_add_co_u32_e32 v4, vcc, s16, v4
	v_addc_co_u32_e32 v5, vcc, v5, v18, vcc
	;; [unrolled: 2-line block ×3, first 2 shown]
	s_movk_i32 s0, 0x3000
	v_or_b32_e32 v52, 0x480, v64
	global_load_dwordx4 v[36:39], v[4:5], off
	global_load_dwordx4 v[90:93], v[2:3], off offset:1024
	global_load_dwordx4 v[70:73], v[2:3], off offset:3328
	v_add_co_u32_e32 v4, vcc, s0, v20
	v_mad_u64_u32 v[8:9], s[0:1], s12, v52, 0
	v_addc_co_u32_e32 v5, vcc, 0, v21, vcc
	global_load_dwordx4 v[40:43], v[6:7], off
	v_add_co_u32_e32 v6, vcc, s16, v6
	v_addc_co_u32_e32 v7, vcc, v7, v18, vcc
	global_load_dwordx4 v[44:47], v[6:7], off
	global_load_dwordx4 v[102:105], v[4:5], off offset:1536
	global_load_dwordx4 v[98:101], v[4:5], off offset:3840
	s_waitcnt vmcnt(15)
	v_mad_u64_u32 v[18:19], s[0:1], s13, v52, v[9:10]
	buffer_store_dword v52, off, s[28:31], 0 offset:16 ; 4-byte Folded Spill
	s_waitcnt vmcnt(13)
	v_mul_f64 v[58:59], v[16:17], v[80:81]
	v_mov_b32_e32 v9, v18
	v_lshlrev_b64 v[8:9], 4, v[8:9]
	v_mul_f64 v[18:19], v[12:13], v[96:97]
	v_add_co_u32_e32 v8, vcc, v23, v8
	v_addc_co_u32_e32 v9, vcc, v48, v9, vcc
	global_load_dwordx4 v[48:51], v[8:9], off
	v_mov_b32_e32 v8, 0x1200
	v_mad_u64_u32 v[8:9], s[0:1], s12, v8, v[6:7]
	s_mul_i32 s0, s13, 0x1200
	v_lshlrev_b32_e32 v23, 4, v52
	v_add_u32_e32 v9, s0, v9
	s_movk_i32 s0, 0x5000
	v_add_co_u32_e32 v6, vcc, s0, v20
	v_addc_co_u32_e32 v7, vcc, 0, v21, vcc
	global_load_dwordx4 v[74:77], v23, s[14:15]
	global_load_dwordx4 v[86:89], v[6:7], off offset:256
	global_load_dwordx4 v[52:55], v[8:9], off
	v_mul_f64 v[56:57], v[10:11], v[96:97]
	v_fma_f64 v[10:11], v[10:11], v[94:95], v[18:19]
	buffer_store_dword v94, off, s[28:31], 0 offset:132 ; 4-byte Folded Spill
	s_nop 0
	buffer_store_dword v95, off, s[28:31], 0 offset:136 ; 4-byte Folded Spill
	buffer_store_dword v96, off, s[28:31], 0 offset:140 ; 4-byte Folded Spill
	;; [unrolled: 1-line block ×3, first 2 shown]
	v_mul_f64 v[60:61], v[14:15], v[80:81]
	v_fma_f64 v[14:15], v[14:15], v[78:79], v[58:59]
	buffer_store_dword v78, off, s[28:31], 0 offset:68 ; 4-byte Folded Spill
	s_nop 0
	buffer_store_dword v79, off, s[28:31], 0 offset:72 ; 4-byte Folded Spill
	buffer_store_dword v80, off, s[28:31], 0 offset:76 ; 4-byte Folded Spill
	;; [unrolled: 1-line block ×3, first 2 shown]
	s_load_dwordx2 s[6:7], s[4:5], 0x38
	s_load_dwordx4 s[8:11], s[2:3], 0x0
	s_waitcnt vmcnt(18)
	v_mul_f64 v[18:19], v[34:35], v[92:93]
	s_waitcnt vmcnt(17)
	v_mul_f64 v[58:59], v[38:39], v[72:73]
	v_fma_f64 v[12:13], v[12:13], v[94:95], -v[56:57]
	v_mul_f64 v[56:57], v[32:33], v[92:93]
	s_waitcnt vmcnt(8)
	v_mul_f64 v[62:63], v[52:53], v[88:89]
	v_fma_f64 v[16:17], v[16:17], v[78:79], -v[60:61]
	ds_write_b128 v22, v[10:13]
	ds_write_b128 v22, v[14:17] offset:2304
	v_mul_f64 v[10:11], v[26:27], v[84:85]
	v_mul_f64 v[14:15], v[30:31], v[68:69]
	;; [unrolled: 1-line block ×5, first 2 shown]
	v_fma_f64 v[10:11], v[24:25], v[82:83], v[10:11]
	buffer_store_dword v82, off, s[28:31], 0 offset:84 ; 4-byte Folded Spill
	s_nop 0
	buffer_store_dword v83, off, s[28:31], 0 offset:88 ; 4-byte Folded Spill
	buffer_store_dword v84, off, s[28:31], 0 offset:92 ; 4-byte Folded Spill
	buffer_store_dword v85, off, s[28:31], 0 offset:96 ; 4-byte Folded Spill
	v_fma_f64 v[14:15], v[28:29], v[66:67], v[14:15]
	buffer_store_dword v66, off, s[28:31], 0 offset:20 ; 4-byte Folded Spill
	s_nop 0
	buffer_store_dword v67, off, s[28:31], 0 offset:24 ; 4-byte Folded Spill
	buffer_store_dword v68, off, s[28:31], 0 offset:28 ; 4-byte Folded Spill
	buffer_store_dword v69, off, s[28:31], 0 offset:32 ; 4-byte Folded Spill
	;; [unrolled: 6-line block ×4, first 2 shown]
	v_mul_f64 v[18:19], v[42:43], v[104:105]
	v_mul_f64 v[36:37], v[46:47], v[100:101]
	;; [unrolled: 1-line block ×3, first 2 shown]
	v_fma_f64 v[32:33], v[40:41], v[102:103], v[18:19]
	v_fma_f64 v[36:37], v[44:45], v[98:99], v[36:37]
	v_fma_f64 v[12:13], v[26:27], v[82:83], -v[12:13]
	v_fma_f64 v[16:17], v[30:31], v[66:67], -v[16:17]
	;; [unrolled: 1-line block ×3, first 2 shown]
	v_mul_f64 v[56:57], v[50:51], v[76:77]
	v_fma_f64 v[30:31], v[38:39], v[70:71], -v[60:61]
	v_mul_f64 v[60:61], v[54:55], v[88:89]
	v_mul_f64 v[34:35], v[40:41], v[104:105]
	buffer_store_dword v102, off, s[28:31], 0 offset:164 ; 4-byte Folded Spill
	s_nop 0
	buffer_store_dword v103, off, s[28:31], 0 offset:168 ; 4-byte Folded Spill
	buffer_store_dword v104, off, s[28:31], 0 offset:172 ; 4-byte Folded Spill
	;; [unrolled: 1-line block ×3, first 2 shown]
	v_mul_f64 v[38:39], v[44:45], v[100:101]
	buffer_store_dword v98, off, s[28:31], 0 offset:148 ; 4-byte Folded Spill
	s_nop 0
	buffer_store_dword v99, off, s[28:31], 0 offset:152 ; 4-byte Folded Spill
	buffer_store_dword v100, off, s[28:31], 0 offset:156 ; 4-byte Folded Spill
	;; [unrolled: 1-line block ×3, first 2 shown]
	v_fma_f64 v[40:41], v[48:49], v[74:75], v[56:57]
	buffer_store_dword v74, off, s[28:31], 0 offset:52 ; 4-byte Folded Spill
	s_nop 0
	buffer_store_dword v75, off, s[28:31], 0 offset:56 ; 4-byte Folded Spill
	buffer_store_dword v76, off, s[28:31], 0 offset:60 ; 4-byte Folded Spill
	;; [unrolled: 1-line block ×3, first 2 shown]
	v_fma_f64 v[44:45], v[52:53], v[86:87], v[60:61]
	buffer_store_dword v86, off, s[28:31], 0 offset:100 ; 4-byte Folded Spill
	s_nop 0
	buffer_store_dword v87, off, s[28:31], 0 offset:104 ; 4-byte Folded Spill
	buffer_store_dword v88, off, s[28:31], 0 offset:108 ; 4-byte Folded Spill
	;; [unrolled: 1-line block ×3, first 2 shown]
	v_fma_f64 v[34:35], v[42:43], v[102:103], -v[34:35]
	v_fma_f64 v[38:39], v[46:47], v[98:99], -v[38:39]
	;; [unrolled: 1-line block ×4, first 2 shown]
	ds_write_b128 v22, v[10:13] offset:4608
	ds_write_b128 v22, v[14:17] offset:6912
	;; [unrolled: 1-line block ×8, first 2 shown]
	buffer_store_dword v64, off, s[28:31], 0 ; 4-byte Folded Spill
	s_nop 0
	buffer_store_dword v65, off, s[28:31], 0 offset:4 ; 4-byte Folded Spill
	v_cmp_gt_u16_e64 s[0:1], 54, v64
	s_and_saveexec_b64 s[2:3], s[0:1]
	s_cbranch_execz .LBB0_3
; %bb.2:
	v_mov_b32_e32 v10, 0xffffb4a0
	v_mad_u64_u32 v[12:13], s[18:19], s12, v10, v[8:9]
	s_mulk_i32 s13, 0xb4a0
	s_sub_i32 s12, s13, s12
	v_add_u32_e32 v13, s12, v13
	v_mov_b32_e32 v82, s17
	v_add_co_u32_e32 v28, vcc, s16, v12
	v_addc_co_u32_e32 v29, vcc, v13, v82, vcc
	v_add_co_u32_e32 v32, vcc, s16, v28
	v_addc_co_u32_e32 v33, vcc, v29, v82, vcc
	;; [unrolled: 2-line block ×3, first 2 shown]
	global_load_dwordx4 v[8:11], v[12:13], off
	s_nop 0
	global_load_dwordx4 v[12:15], v[28:29], off
	global_load_dwordx4 v[16:19], v[20:21], off offset:1440
	global_load_dwordx4 v[24:27], v[20:21], off offset:3744
	s_movk_i32 s12, 0x4000
	global_load_dwordx4 v[28:31], v[32:33], off
	s_nop 0
	global_load_dwordx4 v[32:35], v[44:45], off
	global_load_dwordx4 v[36:39], v[0:1], off offset:1952
	global_load_dwordx4 v[40:43], v[2:3], off offset:160
	v_add_co_u32_e32 v0, vcc, s16, v44
	v_addc_co_u32_e32 v1, vcc, v45, v82, vcc
	global_load_dwordx4 v[44:47], v[0:1], off
	v_add_co_u32_e32 v0, vcc, s16, v0
	v_addc_co_u32_e32 v1, vcc, v1, v82, vcc
	v_add_co_u32_e32 v64, vcc, s16, v0
	v_addc_co_u32_e32 v65, vcc, v1, v82, vcc
	global_load_dwordx4 v[48:51], v[0:1], off
	global_load_dwordx4 v[52:55], v[2:3], off offset:2464
	global_load_dwordx4 v[56:59], v[4:5], off offset:672
	s_nop 0
	global_load_dwordx4 v[0:3], v[64:65], off
	global_load_dwordx4 v[60:63], v[4:5], off offset:2976
	v_add_co_u32_e32 v4, vcc, s16, v64
	v_addc_co_u32_e32 v5, vcc, v65, v82, vcc
	v_add_co_u32_e32 v80, vcc, s12, v20
	v_addc_co_u32_e32 v81, vcc, 0, v21, vcc
	global_load_dwordx4 v[64:67], v[4:5], off
	v_add_co_u32_e32 v4, vcc, s16, v4
	v_addc_co_u32_e32 v5, vcc, v5, v82, vcc
	global_load_dwordx4 v[68:71], v[80:81], off offset:1184
	global_load_dwordx4 v[72:75], v[4:5], off
	global_load_dwordx4 v[76:79], v[80:81], off offset:3488
	v_add_co_u32_e32 v80, vcc, s16, v4
	v_addc_co_u32_e32 v81, vcc, v5, v82, vcc
	global_load_dwordx4 v[4:7], v[6:7], off offset:1696
	s_nop 0
	global_load_dwordx4 v[80:83], v[80:81], off
	s_waitcnt vmcnt(17)
	v_mul_f64 v[84:85], v[10:11], v[18:19]
	v_mul_f64 v[18:19], v[8:9], v[18:19]
	s_waitcnt vmcnt(16)
	v_mul_f64 v[86:87], v[14:15], v[26:27]
	v_mul_f64 v[26:27], v[12:13], v[26:27]
	;; [unrolled: 3-line block ×4, first 2 shown]
	v_fma_f64 v[8:9], v[8:9], v[16:17], v[84:85]
	v_fma_f64 v[10:11], v[10:11], v[16:17], -v[18:19]
	v_fma_f64 v[12:13], v[12:13], v[24:25], v[86:87]
	v_fma_f64 v[14:15], v[14:15], v[24:25], -v[26:27]
	;; [unrolled: 2-line block ×4, first 2 shown]
	ds_write_b128 v22, v[8:11] offset:1440
	ds_write_b128 v22, v[12:15] offset:3744
	s_waitcnt vmcnt(9)
	v_mul_f64 v[92:93], v[46:47], v[54:55]
	v_mul_f64 v[54:55], v[44:45], v[54:55]
	s_waitcnt vmcnt(8)
	v_mul_f64 v[94:95], v[50:51], v[58:59]
	v_mul_f64 v[58:59], v[48:49], v[58:59]
	;; [unrolled: 3-line block ×3, first 2 shown]
	v_fma_f64 v[28:29], v[44:45], v[52:53], v[92:93]
	v_fma_f64 v[30:31], v[46:47], v[52:53], -v[54:55]
	v_fma_f64 v[32:33], v[48:49], v[56:57], v[94:95]
	v_fma_f64 v[34:35], v[50:51], v[56:57], -v[58:59]
	s_waitcnt vmcnt(4)
	v_mul_f64 v[98:99], v[66:67], v[70:71]
	v_mul_f64 v[70:71], v[64:65], v[70:71]
	s_waitcnt vmcnt(2)
	v_mul_f64 v[84:85], v[74:75], v[78:79]
	v_mul_f64 v[78:79], v[72:73], v[78:79]
	v_fma_f64 v[0:1], v[0:1], v[60:61], v[96:97]
	v_fma_f64 v[2:3], v[2:3], v[60:61], -v[62:63]
	s_waitcnt vmcnt(0)
	v_mul_f64 v[86:87], v[82:83], v[6:7]
	v_mul_f64 v[100:101], v[80:81], v[6:7]
	v_fma_f64 v[6:7], v[64:65], v[68:69], v[98:99]
	v_fma_f64 v[8:9], v[66:67], v[68:69], -v[70:71]
	v_fma_f64 v[10:11], v[72:73], v[76:77], v[84:85]
	v_fma_f64 v[12:13], v[74:75], v[76:77], -v[78:79]
	;; [unrolled: 2-line block ×3, first 2 shown]
	ds_write_b128 v22, v[16:19] offset:6048
	ds_write_b128 v22, v[24:27] offset:8352
	;; [unrolled: 1-line block ×8, first 2 shown]
.LBB0_3:
	s_or_b64 exec, exec, s[2:3]
	s_waitcnt vmcnt(0) lgkmcnt(0)
	s_barrier
	ds_read_b128 v[96:99], v22
	ds_read_b128 v[4:7], v22 offset:2304
	ds_read_b128 v[8:11], v22 offset:4608
	;; [unrolled: 1-line block ×9, first 2 shown]
	s_load_dwordx2 s[4:5], s[4:5], 0x8
                                        ; implicit-def: $vgpr64_vgpr65
                                        ; implicit-def: $vgpr68_vgpr69
                                        ; implicit-def: $vgpr80_vgpr81
                                        ; implicit-def: $vgpr76_vgpr77
                                        ; implicit-def: $vgpr84_vgpr85
                                        ; implicit-def: $vgpr56_vgpr57
                                        ; implicit-def: $vgpr52_vgpr53
                                        ; implicit-def: $vgpr48_vgpr49
                                        ; implicit-def: $vgpr44_vgpr45
                                        ; implicit-def: $vgpr40_vgpr41
	s_and_saveexec_b64 s[2:3], s[0:1]
	s_cbranch_execz .LBB0_5
; %bb.4:
	ds_read_b128 v[40:43], v22 offset:1440
	ds_read_b128 v[44:47], v22 offset:3744
	;; [unrolled: 1-line block ×10, first 2 shown]
.LBB0_5:
	s_or_b64 exec, exec, s[2:3]
	buffer_load_dword v141, off, s[28:31], 0 ; 4-byte Folded Reload
	buffer_load_dword v142, off, s[28:31], 0 offset:4 ; 4-byte Folded Reload
	s_waitcnt lgkmcnt(0)
	v_add_f64 v[24:25], v[16:17], v[92:93]
	v_add_f64 v[26:27], v[96:97], v[8:9]
	v_add_f64 v[32:33], v[8:9], -v[16:17]
	v_add_f64 v[34:35], v[12:13], -v[92:93]
	v_add_f64 v[36:37], v[8:9], v[12:13]
	v_add_f64 v[28:29], v[10:11], -v[14:15]
	v_add_f64 v[30:31], v[18:19], -v[94:95]
	s_movk_i32 s18, 0x5a
	v_fma_f64 v[24:25], v[24:25], -0.5, v[96:97]
	v_add_f64 v[26:27], v[26:27], v[16:17]
	s_mov_b32 s2, 0x134454ff
	v_add_f64 v[32:33], v[32:33], v[34:35]
	v_fma_f64 v[34:35], v[36:37], -0.5, v[96:97]
	s_mov_b32 s3, 0x3fee6f0e
	s_mov_b32 s19, 0xbfee6f0e
	v_add_f64 v[100:101], v[16:17], -v[8:9]
	v_fma_f64 v[38:39], v[28:29], s[2:3], v[24:25]
	v_add_f64 v[102:103], v[18:19], v[94:95]
	v_add_f64 v[26:27], v[26:27], v[92:93]
	v_add_f64 v[104:105], v[92:93], -v[12:13]
	s_mov_b32 s12, 0x4755a5e
	s_mov_b32 s13, 0x3fe2cf23
	v_add_f64 v[106:107], v[98:99], v[10:11]
	v_add_f64 v[8:9], v[8:9], -v[12:13]
	v_fma_f64 v[38:39], v[30:31], s[12:13], v[38:39]
	v_fma_f64 v[102:103], v[102:103], -0.5, v[98:99]
	v_add_f64 v[26:27], v[26:27], v[12:13]
	s_mov_b32 s16, 0x372fe950
	s_mov_b32 s17, 0x3fd3c6ef
	v_add_f64 v[16:17], v[16:17], -v[92:93]
	v_add_f64 v[92:93], v[10:11], -v[18:19]
	;; [unrolled: 1-line block ×3, first 2 shown]
	v_fma_f64 v[38:39], v[32:33], s[16:17], v[38:39]
	v_add_f64 v[110:111], v[62:63], -v[74:75]
	s_mov_b32 s22, 0x9b97f4a8
	s_mov_b32 s23, 0x3fe9e377
	v_add_f64 v[129:130], v[54:55], -v[66:67]
	v_add_f64 v[131:132], v[86:87], -v[82:83]
	;; [unrolled: 1-line block ×4, first 2 shown]
	v_add_f64 v[108:109], v[108:109], v[110:111]
	s_waitcnt vmcnt(0)
	s_barrier
	v_add_co_u32_e32 v36, vcc, s18, v141
	s_mov_b32 s18, s2
	v_fma_f64 v[24:25], v[28:29], s[18:19], v[24:25]
	v_fma_f64 v[96:97], v[30:31], s[18:19], v[34:35]
	v_addc_co_u32_e64 v37, s[20:21], 0, 0, vcc
	s_mov_b32 s21, 0xbfe2cf23
	s_mov_b32 s20, s12
	v_fma_f64 v[12:13], v[30:31], s[20:21], v[24:25]
	v_fma_f64 v[24:25], v[28:29], s[12:13], v[96:97]
	v_add_f64 v[96:97], v[100:101], v[104:105]
	v_add_f64 v[100:101], v[10:11], v[14:15]
	v_fma_f64 v[30:31], v[30:31], s[2:3], v[34:35]
	v_add_f64 v[34:35], v[106:107], v[18:19]
	v_fma_f64 v[104:105], v[8:9], s[18:19], v[102:103]
	v_add_f64 v[106:107], v[14:15], -v[94:95]
	v_fma_f64 v[12:13], v[32:33], s[16:17], v[12:13]
	v_add_f64 v[10:11], v[18:19], -v[10:11]
	v_fma_f64 v[24:25], v[96:97], s[16:17], v[24:25]
	v_fma_f64 v[32:33], v[100:101], -0.5, v[98:99]
	v_fma_f64 v[28:29], v[28:29], s[20:21], v[30:31]
	v_fma_f64 v[100:101], v[8:9], s[2:3], v[102:103]
	v_add_f64 v[30:31], v[34:35], v[94:95]
	v_add_f64 v[34:35], v[88:89], v[72:73]
	v_fma_f64 v[98:99], v[16:17], s[20:21], v[104:105]
	v_add_f64 v[92:93], v[92:93], v[106:107]
	v_add_f64 v[18:19], v[94:95], -v[14:15]
	v_fma_f64 v[102:103], v[16:17], s[2:3], v[32:33]
	v_fma_f64 v[28:29], v[96:97], s[16:17], v[28:29]
	;; [unrolled: 1-line block ×3, first 2 shown]
	v_add_f64 v[94:95], v[4:5], v[0:1]
	v_fma_f64 v[34:35], v[34:35], -0.5, v[4:5]
	v_add_f64 v[104:105], v[2:3], -v[62:63]
	v_add_f64 v[14:15], v[30:31], v[14:15]
	v_fma_f64 v[30:31], v[92:93], s[16:17], v[98:99]
	v_fma_f64 v[16:17], v[16:17], s[18:19], v[32:33]
	;; [unrolled: 1-line block ×4, first 2 shown]
	v_add_f64 v[92:93], v[0:1], v[60:61]
	v_add_f64 v[96:97], v[90:91], v[74:75]
	;; [unrolled: 1-line block ×4, first 2 shown]
	v_fma_f64 v[94:95], v[104:105], s[2:3], v[34:35]
	v_add_f64 v[100:101], v[90:91], -v[74:75]
	v_add_f64 v[102:103], v[0:1], -v[88:89]
	;; [unrolled: 1-line block ×3, first 2 shown]
	v_fma_f64 v[4:5], v[92:93], -0.5, v[4:5]
	v_fma_f64 v[8:9], v[8:9], s[12:13], v[16:17]
	v_add_f64 v[16:17], v[2:3], v[62:63]
	v_fma_f64 v[92:93], v[96:97], -0.5, v[6:7]
	v_add_f64 v[96:97], v[0:1], -v[60:61]
	v_fma_f64 v[32:33], v[10:11], s[16:17], v[98:99]
	v_add_f64 v[18:19], v[18:19], v[72:73]
	v_fma_f64 v[94:95], v[100:101], s[12:13], v[94:95]
	v_add_f64 v[98:99], v[102:103], v[106:107]
	v_fma_f64 v[34:35], v[104:105], s[18:19], v[34:35]
	v_add_f64 v[106:107], v[88:89], -v[72:73]
	v_fma_f64 v[16:17], v[16:17], -0.5, v[6:7]
	v_add_f64 v[0:1], v[88:89], -v[0:1]
	v_fma_f64 v[88:89], v[96:97], s[18:19], v[92:93]
	v_add_f64 v[18:19], v[18:19], v[60:61]
	v_add_f64 v[60:61], v[72:73], -v[60:61]
	v_fma_f64 v[102:103], v[98:99], s[16:17], v[94:95]
	v_fma_f64 v[34:35], v[100:101], s[20:21], v[34:35]
	;; [unrolled: 1-line block ×4, first 2 shown]
	v_add_f64 v[6:7], v[6:7], v[2:3]
	v_fma_f64 v[72:73], v[106:107], s[2:3], v[16:17]
	v_add_f64 v[2:3], v[90:91], -v[2:3]
	v_add_f64 v[100:101], v[74:75], -v[62:63]
	v_fma_f64 v[88:89], v[106:107], s[20:21], v[88:89]
	v_fma_f64 v[16:17], v[106:107], s[18:19], v[16:17]
	v_add_f64 v[0:1], v[0:1], v[60:61]
	v_fma_f64 v[4:5], v[104:105], s[20:21], v[4:5]
	v_add_f64 v[6:7], v[6:7], v[90:91]
	v_fma_f64 v[60:61], v[96:97], s[20:21], v[72:73]
	v_fma_f64 v[94:95], v[104:105], s[12:13], v[94:95]
	v_add_f64 v[2:3], v[2:3], v[100:101]
	v_fma_f64 v[72:73], v[108:109], s[16:17], v[88:89]
	v_fma_f64 v[88:89], v[96:97], s[2:3], v[92:93]
	v_fma_f64 v[16:17], v[96:97], s[12:13], v[16:17]
	v_mul_f64 v[90:91], v[102:103], s[22:23]
	v_fma_f64 v[4:5], v[0:1], s[16:17], v[4:5]
	v_fma_f64 v[34:35], v[98:99], s[16:17], v[34:35]
	v_add_f64 v[6:7], v[6:7], v[74:75]
	v_fma_f64 v[60:61], v[2:3], s[16:17], v[60:61]
	v_fma_f64 v[0:1], v[0:1], s[16:17], v[94:95]
	;; [unrolled: 1-line block ×5, first 2 shown]
	v_mul_f64 v[95:96], v[4:5], s[16:17]
	v_fma_f64 v[8:9], v[10:11], s[16:17], v[8:9]
	v_add_f64 v[6:7], v[6:7], v[62:63]
	v_mul_f64 v[91:92], v[60:61], s[2:3]
	v_mul_f64 v[62:63], v[34:35], s[22:23]
	v_fma_f64 v[10:11], v[108:109], s[16:17], v[74:75]
	v_add_f64 v[89:90], v[26:27], v[18:19]
	v_add_f64 v[93:94], v[38:39], v[16:17]
	v_fma_f64 v[111:112], v[2:3], s[2:3], -v[95:96]
	v_mul_f64 v[2:3], v[2:3], s[16:17]
	v_add_f64 v[109:110], v[26:27], -v[18:19]
	v_fma_f64 v[74:75], v[0:1], s[16:17], v[91:92]
	v_mul_f64 v[0:1], v[0:1], s[18:19]
	v_mul_f64 v[95:96], v[10:11], s[22:23]
	v_fma_f64 v[10:11], v[10:11], s[12:13], -v[62:63]
	v_add_f64 v[62:63], v[68:69], v[56:57]
	v_mul_f64 v[91:92], v[102:103], s[20:21]
	v_fma_f64 v[2:3], v[4:5], s[18:19], -v[2:3]
	v_add_f64 v[113:114], v[38:39], -v[16:17]
	v_add_f64 v[18:19], v[58:59], -v[70:71]
	v_fma_f64 v[0:1], v[60:61], s[16:17], v[0:1]
	v_fma_f64 v[4:5], v[34:35], s[20:21], -v[95:96]
	v_add_f64 v[60:61], v[50:51], -v[78:79]
	v_fma_f64 v[34:35], v[62:63], -0.5, v[40:41]
	v_add_f64 v[97:98], v[24:25], v[74:75]
	v_add_f64 v[101:102], v[28:29], v[111:112]
	v_fma_f64 v[72:73], v[72:73], s[22:23], v[91:92]
	v_add_f64 v[105:106], v[12:13], v[10:11]
	v_add_f64 v[91:92], v[14:15], v[6:7]
	v_add_f64 v[26:27], v[48:49], -v[56:57]
	v_add_f64 v[38:39], v[76:77], -v[68:69]
	v_fma_f64 v[16:17], v[60:61], s[2:3], v[34:35]
	v_add_f64 v[117:118], v[24:25], -v[74:75]
	v_add_f64 v[24:25], v[76:77], v[48:49]
	v_add_f64 v[121:122], v[28:29], -v[111:112]
	v_add_f64 v[125:126], v[12:13], -v[10:11]
	v_fma_f64 v[10:11], v[60:61], s[18:19], v[34:35]
	v_add_f64 v[111:112], v[14:15], -v[6:7]
	v_add_f64 v[103:104], v[8:9], v[2:3]
	v_fma_f64 v[6:7], v[18:19], s[12:13], v[16:17]
	v_add_f64 v[16:17], v[70:71], v[58:59]
	v_add_f64 v[107:108], v[127:128], v[4:5]
	;; [unrolled: 1-line block ×3, first 2 shown]
	v_fma_f64 v[14:15], v[24:25], -0.5, v[40:41]
	v_fma_f64 v[10:11], v[18:19], s[20:21], v[10:11]
	v_add_f64 v[123:124], v[8:9], -v[2:3]
	v_add_f64 v[127:128], v[127:128], -v[4:5]
	v_add_f64 v[4:5], v[78:79], v[50:51]
	v_fma_f64 v[8:9], v[16:17], -0.5, v[42:43]
	v_add_f64 v[16:17], v[48:49], -v[76:77]
	v_add_f64 v[99:100], v[32:33], v[0:1]
	v_add_f64 v[119:120], v[32:33], -v[0:1]
	v_fma_f64 v[0:1], v[12:13], s[16:17], v[6:7]
	v_fma_f64 v[6:7], v[18:19], s[18:19], v[14:15]
	;; [unrolled: 1-line block ×3, first 2 shown]
	v_add_f64 v[10:11], v[56:57], -v[48:49]
	v_add_f64 v[12:13], v[68:69], -v[76:77]
	;; [unrolled: 1-line block ×3, first 2 shown]
	v_fma_f64 v[4:5], v[4:5], -0.5, v[42:43]
	v_fma_f64 v[14:15], v[18:19], s[2:3], v[14:15]
	v_fma_f64 v[18:19], v[16:17], s[18:19], v[8:9]
	v_add_f64 v[26:27], v[50:51], -v[58:59]
	v_add_f64 v[28:29], v[78:79], -v[70:71]
	v_fma_f64 v[8:9], v[16:17], s[2:3], v[8:9]
	v_add_f64 v[95:96], v[30:31], v[72:73]
	v_add_f64 v[115:116], v[30:31], -v[72:73]
	v_fma_f64 v[6:7], v[60:61], s[12:13], v[6:7]
	v_add_f64 v[10:11], v[12:13], v[10:11]
	v_fma_f64 v[12:13], v[24:25], s[2:3], v[4:5]
	v_add_f64 v[30:31], v[58:59], -v[50:51]
	v_add_f64 v[32:33], v[70:71], -v[78:79]
	v_fma_f64 v[14:15], v[60:61], s[20:21], v[14:15]
	v_fma_f64 v[18:19], v[24:25], s[20:21], v[18:19]
	v_add_f64 v[26:27], v[28:29], v[26:27]
	v_fma_f64 v[28:29], v[24:25], s[12:13], v[8:9]
	v_fma_f64 v[24:25], v[24:25], s[18:19], v[4:5]
	;; [unrolled: 1-line block ×4, first 2 shown]
	v_add_f64 v[30:31], v[32:33], v[30:31]
	v_fma_f64 v[6:7], v[10:11], s[16:17], v[14:15]
	v_add_f64 v[34:35], v[64:65], v[80:81]
	v_fma_f64 v[8:9], v[26:27], s[16:17], v[18:19]
	v_fma_f64 v[12:13], v[26:27], s[16:17], v[28:29]
	v_fma_f64 v[14:15], v[16:17], s[12:13], v[24:25]
	v_add_f64 v[24:25], v[66:67], v[82:83]
	v_add_f64 v[26:27], v[52:53], -v[64:65]
	v_fma_f64 v[10:11], v[30:31], s[16:17], v[38:39]
	v_add_f64 v[28:29], v[84:85], -v[80:81]
	v_add_f64 v[32:33], v[84:85], v[52:53]
	v_fma_f64 v[16:17], v[34:35], -0.5, v[44:45]
	v_add_f64 v[18:19], v[54:55], -v[86:87]
	v_fma_f64 v[14:15], v[30:31], s[16:17], v[14:15]
	v_add_f64 v[30:31], v[86:87], v[54:55]
	v_add_f64 v[38:39], v[66:67], -v[82:83]
	v_fma_f64 v[24:25], v[24:25], -0.5, v[46:47]
	v_add_f64 v[60:61], v[52:53], -v[84:85]
	v_add_f64 v[26:27], v[28:29], v[26:27]
	v_fma_f64 v[28:29], v[32:33], -0.5, v[44:45]
	v_add_f64 v[32:33], v[64:65], -v[80:81]
	v_fma_f64 v[34:35], v[18:19], s[2:3], v[16:17]
	v_fma_f64 v[30:31], v[30:31], -0.5, v[46:47]
	v_fma_f64 v[16:17], v[18:19], s[18:19], v[16:17]
	v_add_f64 v[62:63], v[64:65], -v[52:53]
	v_add_f64 v[72:73], v[80:81], -v[84:85]
	v_fma_f64 v[74:75], v[60:61], s[18:19], v[24:25]
	v_fma_f64 v[133:134], v[38:39], s[18:19], v[28:29]
	;; [unrolled: 1-line block ×7, first 2 shown]
	v_add_f64 v[62:63], v[72:73], v[62:63]
	v_fma_f64 v[72:73], v[32:33], s[20:21], v[74:75]
	v_add_f64 v[74:75], v[131:132], v[129:130]
	v_add_f64 v[131:132], v[139:140], v[137:138]
	v_fma_f64 v[28:29], v[18:19], s[20:21], v[28:29]
	v_fma_f64 v[129:130], v[60:61], s[20:21], v[135:136]
	;; [unrolled: 1-line block ×14, first 2 shown]
	v_mul_f64 v[24:25], v[32:33], s[12:13]
	v_mul_f64 v[62:63], v[72:73], s[22:23]
	;; [unrolled: 1-line block ×8, first 2 shown]
	v_fma_f64 v[16:17], v[16:17], s[22:23], v[24:25]
	v_fma_f64 v[24:25], v[26:27], s[2:3], -v[34:35]
	v_fma_f64 v[18:19], v[18:19], s[16:17], v[30:31]
	v_fma_f64 v[26:27], v[28:29], s[12:13], -v[62:63]
	v_fma_f64 v[28:29], v[32:33], s[22:23], v[74:75]
	v_fma_f64 v[30:31], v[38:39], s[16:17], v[129:130]
	v_fma_f64 v[32:33], v[60:61], s[18:19], -v[131:132]
	v_fma_f64 v[34:35], v[72:73], s[20:21], -v[133:134]
	v_add_f64 v[156:157], v[0:1], -v[16:17]
	v_add_f64 v[60:61], v[6:7], -v[24:25]
	;; [unrolled: 1-line block ×8, first 2 shown]
	v_mul_lo_u16_e32 v38, 10, v141
	v_lshlrev_b32_e32 v88, 4, v38
	v_mul_u32_u24_e32 v38, 10, v36
	ds_write_b128 v88, v[89:92]
	ds_write_b128 v88, v[93:96] offset:16
	ds_write_b128 v88, v[97:100] offset:32
	;; [unrolled: 1-line block ×9, first 2 shown]
	buffer_store_dword v38, off, s[28:31], 0 offset:416 ; 4-byte Folded Spill
	s_and_saveexec_b64 s[2:3], s[0:1]
	s_cbranch_execz .LBB0_7
; %bb.6:
	v_add_f64 v[38:39], v[50:51], v[42:43]
	v_add_f64 v[42:43], v[54:55], v[46:47]
	;; [unrolled: 1-line block ×24, first 2 shown]
	v_mul_u32_u24_e32 v0, 10, v36
	v_lshlrev_b32_e32 v4, 4, v0
	ds_write_b128 v4, v[156:159] offset:96
	v_add_f64 v[2:3], v[14:15], -v[26:27]
	v_add_f64 v[16:17], v[26:27], v[14:15]
	v_add_f64 v[14:15], v[34:35], v[28:29]
	v_add_f64 v[0:1], v[28:29], -v[34:35]
	ds_write_b128 v4, v[160:163] offset:112
	ds_write_b128 v4, v[60:63] offset:128
	;; [unrolled: 1-line block ×6, first 2 shown]
	ds_write_b128 v4, v[14:17]
	ds_write_b128 v4, v[0:3] offset:80
	ds_write_b128 v4, v[72:75] offset:144
.LBB0_7:
	s_or_b64 exec, exec, s[2:3]
	buffer_load_dword v103, off, s[28:31], 0 ; 4-byte Folded Reload
	buffer_load_dword v104, off, s[28:31], 0 offset:4 ; 4-byte Folded Reload
	s_movk_i32 s2, 0xcd
	v_mov_b32_e32 v2, s4
	v_mov_b32_e32 v3, s5
	s_waitcnt vmcnt(0) lgkmcnt(0)
	s_barrier
	s_mov_b32 s13, 0x3fe6a09e
	s_mov_b32 s16, 0xcf328d46
	;; [unrolled: 1-line block ×9, first 2 shown]
	v_mul_lo_u16_sdwa v0, v103, s2 dst_sel:DWORD dst_unused:UNUSED_PAD src0_sel:BYTE_0 src1_sel:DWORD
	v_lshrrev_b16_e32 v0, 11, v0
	v_mul_lo_u16_e32 v1, 10, v0
	v_sub_u16_e32 v1, v103, v1
	v_and_b32_e32 v1, 0xff, v1
	s_movk_i32 s2, 0xf0
	v_mad_u64_u32 v[2:3], s[2:3], v1, s2, v[2:3]
	s_mov_b32 s2, 0x667f3bcd
	global_load_dwordx4 v[206:209], v[2:3], off
	global_load_dwordx4 v[198:201], v[2:3], off offset:16
	global_load_dwordx4 v[182:185], v[2:3], off offset:32
	global_load_dwordx4 v[178:181], v[2:3], off offset:48
	global_load_dwordx4 v[116:119], v[2:3], off offset:64
	global_load_dwordx4 v[108:111], v[2:3], off offset:80
	global_load_dwordx4 v[190:193], v[2:3], off offset:96
	global_load_dwordx4 v[186:189], v[2:3], off offset:112
	global_load_dwordx4 v[132:135], v[2:3], off offset:128
	global_load_dwordx4 v[120:123], v[2:3], off offset:144
	global_load_dwordx4 v[202:205], v[2:3], off offset:160
	global_load_dwordx4 v[194:197], v[2:3], off offset:176
	global_load_dwordx4 v[136:139], v[2:3], off offset:192
	global_load_dwordx4 v[128:131], v[2:3], off offset:208
	global_load_dwordx4 v[104:107], v[2:3], off offset:224
	ds_read_b128 v[2:5], v22
	ds_read_b128 v[6:9], v22 offset:1440
	ds_read_b128 v[10:13], v22 offset:2880
	ds_read_b128 v[14:17], v22 offset:4320
	ds_read_b128 v[24:27], v22 offset:5760
	ds_read_b128 v[28:31], v22 offset:7200
	ds_read_b128 v[32:35], v22 offset:8640
	ds_read_b128 v[38:41], v22 offset:10080
	ds_read_b128 v[42:45], v22 offset:11520
	ds_read_b128 v[46:49], v22 offset:12960
	ds_read_b128 v[50:53], v22 offset:14400
	ds_read_b128 v[54:57], v22 offset:15840
	ds_read_b128 v[80:83], v22 offset:17280
	ds_read_b128 v[112:115], v22 offset:18720
	ds_read_b128 v[124:127], v22 offset:20160
	ds_read_b128 v[140:143], v22 offset:21600
	s_mov_b32 s3, 0xbfe6a09e
	s_mov_b32 s12, s2
	v_mul_u32_u24_e32 v0, 0xa0, v0
	v_or_b32_e32 v0, v0, v1
	s_waitcnt vmcnt(14) lgkmcnt(14)
	v_mul_f64 v[18:19], v[8:9], v[208:209]
	s_waitcnt vmcnt(13) lgkmcnt(13)
	v_mul_f64 v[64:65], v[12:13], v[200:201]
	;; [unrolled: 2-line block ×4, first 2 shown]
	v_mul_f64 v[58:59], v[6:7], v[208:209]
	v_mul_f64 v[66:67], v[10:11], v[200:201]
	;; [unrolled: 1-line block ×4, first 2 shown]
	v_fma_f64 v[6:7], v[6:7], v[206:207], -v[18:19]
	buffer_store_dword v206, off, s[28:31], 0 offset:388 ; 4-byte Folded Spill
	s_nop 0
	buffer_store_dword v207, off, s[28:31], 0 offset:392 ; 4-byte Folded Spill
	buffer_store_dword v208, off, s[28:31], 0 offset:396 ; 4-byte Folded Spill
	buffer_store_dword v209, off, s[28:31], 0 offset:400 ; 4-byte Folded Spill
	v_fma_f64 v[10:11], v[10:11], v[198:199], -v[64:65]
	buffer_store_dword v198, off, s[28:31], 0 offset:356 ; 4-byte Folded Spill
	s_nop 0
	buffer_store_dword v199, off, s[28:31], 0 offset:360 ; 4-byte Folded Spill
	buffer_store_dword v200, off, s[28:31], 0 offset:364 ; 4-byte Folded Spill
	buffer_store_dword v201, off, s[28:31], 0 offset:368 ; 4-byte Folded Spill
	;; [unrolled: 6-line block ×4, first 2 shown]
	s_waitcnt vmcnt(26) lgkmcnt(10)
	v_mul_f64 v[84:85], v[30:31], v[118:119]
	v_mul_f64 v[86:87], v[28:29], v[118:119]
	s_waitcnt vmcnt(25) lgkmcnt(9)
	v_mul_f64 v[89:90], v[34:35], v[110:111]
	v_mul_f64 v[91:92], v[32:33], v[110:111]
	;; [unrolled: 3-line block ×9, first 2 shown]
	v_mul_f64 v[168:169], v[112:113], v[138:139]
	s_waitcnt vmcnt(16) lgkmcnt(0)
	v_mul_f64 v[176:177], v[140:141], v[106:107]
	v_mul_f64 v[166:167], v[114:115], v[138:139]
	;; [unrolled: 1-line block ×3, first 2 shown]
	v_fma_f64 v[68:69], v[124:125], v[128:129], -v[170:171]
	v_fma_f64 v[64:65], v[112:113], v[136:137], -v[166:167]
	;; [unrolled: 1-line block ×3, first 2 shown]
	v_fma_f64 v[8:9], v[8:9], v[206:207], v[58:59]
	v_fma_f64 v[12:13], v[12:13], v[198:199], v[66:67]
	v_fma_f64 v[66:67], v[114:115], v[136:137], v[168:169]
	v_fma_f64 v[16:17], v[16:17], v[182:183], v[70:71]
	v_fma_f64 v[70:71], v[126:127], v[128:129], v[172:173]
	v_fma_f64 v[24:25], v[26:27], v[178:179], v[78:79]
	v_fma_f64 v[26:27], v[28:29], v[116:117], -v[84:85]
	v_fma_f64 v[28:29], v[30:31], v[116:117], v[86:87]
	v_fma_f64 v[30:31], v[32:33], v[108:109], -v[89:90]
	v_fma_f64 v[32:33], v[34:35], v[108:109], v[91:92]
	v_fma_f64 v[34:35], v[38:39], v[190:191], -v[93:94]
	buffer_store_dword v190, off, s[28:31], 0 offset:324 ; 4-byte Folded Spill
	s_nop 0
	buffer_store_dword v191, off, s[28:31], 0 offset:328 ; 4-byte Folded Spill
	buffer_store_dword v192, off, s[28:31], 0 offset:332 ; 4-byte Folded Spill
	;; [unrolled: 1-line block ×3, first 2 shown]
	v_fma_f64 v[78:79], v[142:143], v[104:105], v[176:177]
	v_add_f64 v[64:65], v[26:27], -v[64:65]
	v_add_f64 v[66:67], v[28:29], -v[66:67]
	;; [unrolled: 1-line block ×5, first 2 shown]
	v_fma_f64 v[26:27], v[26:27], 2.0, -v[64:65]
	v_fma_f64 v[28:29], v[28:29], 2.0, -v[66:67]
	;; [unrolled: 1-line block ×5, first 2 shown]
	v_fma_f64 v[38:39], v[40:41], v[190:191], v[95:96]
	v_fma_f64 v[40:41], v[42:43], v[186:187], -v[97:98]
	buffer_store_dword v186, off, s[28:31], 0 offset:292 ; 4-byte Folded Spill
	s_nop 0
	buffer_store_dword v187, off, s[28:31], 0 offset:296 ; 4-byte Folded Spill
	buffer_store_dword v188, off, s[28:31], 0 offset:300 ; 4-byte Folded Spill
	;; [unrolled: 1-line block ×3, first 2 shown]
	v_add_f64 v[78:79], v[38:39], -v[78:79]
	v_add_f64 v[40:41], v[2:3], -v[40:41]
	v_fma_f64 v[38:39], v[38:39], 2.0, -v[78:79]
	v_fma_f64 v[2:3], v[2:3], 2.0, -v[40:41]
	v_fma_f64 v[42:43], v[44:45], v[186:187], v[99:100]
	v_fma_f64 v[44:45], v[46:47], v[132:133], -v[101:102]
	v_fma_f64 v[46:47], v[48:49], v[132:133], v[144:145]
	v_fma_f64 v[48:49], v[50:51], v[120:121], -v[146:147]
	;; [unrolled: 2-line block ×3, first 2 shown]
	buffer_store_dword v202, off, s[28:31], 0 offset:372 ; 4-byte Folded Spill
	s_nop 0
	buffer_store_dword v203, off, s[28:31], 0 offset:376 ; 4-byte Folded Spill
	buffer_store_dword v204, off, s[28:31], 0 offset:380 ; 4-byte Folded Spill
	;; [unrolled: 1-line block ×3, first 2 shown]
	v_add_f64 v[42:43], v[4:5], -v[42:43]
	v_add_f64 v[44:45], v[6:7], -v[44:45]
	v_add_f64 v[46:47], v[8:9], -v[46:47]
	v_add_f64 v[48:49], v[10:11], -v[48:49]
	v_add_f64 v[50:51], v[12:13], -v[50:51]
	v_add_f64 v[52:53], v[14:15], -v[52:53]
	v_fma_f64 v[4:5], v[4:5], 2.0, -v[42:43]
	v_add_f64 v[66:67], v[44:45], -v[66:67]
	v_fma_f64 v[8:9], v[8:9], 2.0, -v[46:47]
	v_fma_f64 v[10:11], v[10:11], 2.0, -v[48:49]
	;; [unrolled: 1-line block ×3, first 2 shown]
	v_add_f64 v[70:71], v[48:49], -v[70:71]
	v_add_f64 v[78:79], v[52:53], -v[78:79]
	v_fma_f64 v[6:7], v[6:7], 2.0, -v[44:45]
	v_fma_f64 v[14:15], v[14:15], 2.0, -v[52:53]
	v_add_f64 v[68:69], v[50:51], v[68:69]
	v_add_f64 v[28:29], v[8:9], -v[28:29]
	v_add_f64 v[30:31], v[10:11], -v[30:31]
	;; [unrolled: 1-line block ×3, first 2 shown]
	v_fma_f64 v[48:49], v[48:49], 2.0, -v[70:71]
	v_add_f64 v[64:65], v[46:47], v[64:65]
	v_fma_f64 v[44:45], v[44:45], 2.0, -v[66:67]
	v_fma_f64 v[52:53], v[52:53], 2.0, -v[78:79]
	;; [unrolled: 1-line block ×3, first 2 shown]
	v_add_f64 v[26:27], v[6:7], -v[26:27]
	v_fma_f64 v[10:11], v[10:11], 2.0, -v[30:31]
	v_fma_f64 v[12:13], v[12:13], 2.0, -v[32:33]
	v_add_f64 v[34:35], v[14:15], -v[34:35]
	v_fma_f64 v[8:9], v[8:9], 2.0, -v[28:29]
	v_fma_f64 v[46:47], v[46:47], 2.0, -v[64:65]
	;; [unrolled: 1-line block ×4, first 2 shown]
	v_add_f64 v[97:98], v[28:29], v[34:35]
	v_fma_f64 v[54:55], v[56:57], v[202:203], v[152:153]
	v_fma_f64 v[56:57], v[80:81], v[194:195], -v[154:155]
	buffer_store_dword v194, off, s[28:31], 0 offset:340 ; 4-byte Folded Spill
	s_nop 0
	buffer_store_dword v195, off, s[28:31], 0 offset:344 ; 4-byte Folded Spill
	buffer_store_dword v196, off, s[28:31], 0 offset:348 ; 4-byte Folded Spill
	;; [unrolled: 1-line block ×3, first 2 shown]
	s_waitcnt vmcnt(0)
	s_barrier
	v_add_f64 v[54:55], v[16:17], -v[54:55]
	v_add_f64 v[56:57], v[18:19], -v[56:57]
	v_fma_f64 v[16:17], v[16:17], 2.0, -v[54:55]
	v_fma_f64 v[18:19], v[18:19], 2.0, -v[56:57]
	v_add_f64 v[56:57], v[42:43], v[56:57]
	v_add_f64 v[76:77], v[54:55], v[76:77]
	v_add_f64 v[38:39], v[16:17], -v[38:39]
	v_add_f64 v[18:19], v[2:3], -v[18:19]
	v_fma_f64 v[42:43], v[42:43], 2.0, -v[56:57]
	v_fma_f64 v[54:55], v[54:55], 2.0, -v[76:77]
	;; [unrolled: 1-line block ×4, first 2 shown]
	v_add_f64 v[89:90], v[18:19], -v[32:33]
	v_add_f64 v[95:96], v[26:27], -v[38:39]
	;; [unrolled: 1-line block ×4, first 2 shown]
	v_fma_f64 v[18:19], v[18:19], 2.0, -v[89:90]
	v_fma_f64 v[58:59], v[82:83], v[194:195], v[164:165]
	v_fma_f64 v[82:83], v[50:51], s[2:3], v[42:43]
	v_add_f64 v[58:59], v[24:25], -v[58:59]
	v_fma_f64 v[82:83], v[48:49], s[12:13], v[82:83]
	v_fma_f64 v[24:25], v[24:25], 2.0, -v[58:59]
	v_add_f64 v[58:59], v[40:41], -v[58:59]
	v_fma_f64 v[42:43], v[42:43], 2.0, -v[82:83]
	v_add_f64 v[24:25], v[4:5], -v[24:25]
	v_fma_f64 v[40:41], v[40:41], 2.0, -v[58:59]
	v_fma_f64 v[10:11], v[70:71], s[12:13], v[58:59]
	v_fma_f64 v[4:5], v[4:5], 2.0, -v[24:25]
	v_fma_f64 v[80:81], v[48:49], s[2:3], v[40:41]
	v_add_f64 v[91:92], v[24:25], v[30:31]
	v_fma_f64 v[30:31], v[2:3], 2.0, -v[84:85]
	v_fma_f64 v[2:3], v[52:53], s[2:3], v[44:45]
	v_add_f64 v[86:87], v[4:5], -v[12:13]
	v_fma_f64 v[12:13], v[68:69], s[12:13], v[56:57]
	v_fma_f64 v[80:81], v[50:51], s[2:3], v[80:81]
	;; [unrolled: 1-line block ×4, first 2 shown]
	v_fma_f64 v[48:49], v[24:25], 2.0, -v[91:92]
	v_fma_f64 v[32:33], v[4:5], 2.0, -v[86:87]
	v_fma_f64 v[70:71], v[70:71], s[12:13], v[12:13]
	v_fma_f64 v[4:5], v[54:55], s[2:3], v[46:47]
	v_fma_f64 v[12:13], v[76:77], s[12:13], v[64:65]
	v_fma_f64 v[54:55], v[54:55], s[2:3], v[2:3]
	v_fma_f64 v[40:41], v[40:41], 2.0, -v[80:81]
	v_fma_f64 v[50:51], v[58:59], 2.0, -v[68:69]
	v_add_f64 v[58:59], v[6:7], -v[14:15]
	v_fma_f64 v[76:77], v[76:77], s[2:3], v[10:11]
	v_fma_f64 v[10:11], v[28:29], 2.0, -v[97:98]
	v_fma_f64 v[52:53], v[52:53], s[12:13], v[4:5]
	v_fma_f64 v[78:79], v[78:79], s[12:13], v[12:13]
	v_fma_f64 v[4:5], v[8:9], 2.0, -v[93:94]
	v_fma_f64 v[8:9], v[44:45], 2.0, -v[54:55]
	v_fma_f64 v[12:13], v[26:27], 2.0, -v[95:96]
	v_fma_f64 v[56:57], v[56:57], 2.0, -v[70:71]
	v_fma_f64 v[2:3], v[6:7], 2.0, -v[58:59]
	v_fma_f64 v[16:17], v[66:67], 2.0, -v[76:77]
	v_fma_f64 v[6:7], v[46:47], 2.0, -v[52:53]
	v_fma_f64 v[14:15], v[64:65], 2.0, -v[78:79]
	v_fma_f64 v[34:35], v[10:11], s[2:3], v[48:49]
	v_fma_f64 v[24:25], v[8:9], s[16:17], v[40:41]
	;; [unrolled: 1-line block ×3, first 2 shown]
	v_add_f64 v[4:5], v[32:33], -v[4:5]
	v_add_f64 v[2:3], v[30:31], -v[2:3]
	v_fma_f64 v[38:39], v[16:17], s[18:19], v[50:51]
	v_fma_f64 v[26:27], v[6:7], s[16:17], v[42:43]
	;; [unrolled: 1-line block ×10, first 2 shown]
	v_fma_f64 v[26:27], v[32:33], 2.0, -v[4:5]
	v_fma_f64 v[34:35], v[48:49], 2.0, -v[12:13]
	v_fma_f64 v[48:49], v[52:53], s[20:21], v[82:83]
	v_fma_f64 v[16:17], v[16:17], s[22:23], v[24:25]
	v_fma_f64 v[32:33], v[18:19], 2.0, -v[10:11]
	v_fma_f64 v[18:19], v[54:55], s[20:21], v[80:81]
	v_fma_f64 v[28:29], v[40:41], 2.0, -v[6:7]
	v_fma_f64 v[38:39], v[50:51], 2.0, -v[14:15]
	v_fma_f64 v[50:51], v[95:96], s[12:13], v[89:90]
	v_fma_f64 v[24:25], v[30:31], 2.0, -v[2:3]
	v_fma_f64 v[30:31], v[42:43], 2.0, -v[8:9]
	;; [unrolled: 1-line block ×3, first 2 shown]
	v_fma_f64 v[56:57], v[97:98], s[12:13], v[91:92]
	v_add_f64 v[42:43], v[84:85], -v[93:94]
	v_add_f64 v[44:45], v[86:87], v[58:59]
	v_fma_f64 v[46:47], v[52:53], s[16:17], v[18:19]
	v_fma_f64 v[48:49], v[54:55], s[22:23], v[48:49]
	;; [unrolled: 1-line block ×6, first 2 shown]
	v_fma_f64 v[54:55], v[84:85], 2.0, -v[42:43]
	v_fma_f64 v[56:57], v[86:87], 2.0, -v[44:45]
	;; [unrolled: 1-line block ×8, first 2 shown]
	v_lshlrev_b32_e32 v64, 4, v0
	ds_write_b128 v64, v[24:27]
	ds_write_b128 v64, v[28:31] offset:160
	ds_write_b128 v64, v[32:35] offset:320
	;; [unrolled: 1-line block ×15, first 2 shown]
	s_waitcnt lgkmcnt(0)
	s_barrier
	ds_read_b128 v[184:187], v22
	ds_read_b128 v[180:183], v22 offset:1440
	ds_read_b128 v[52:55], v22 offset:15360
	;; [unrolled: 1-line block ×14, first 2 shown]
	v_cmp_gt_u16_e64 s[2:3], 30, v103
	s_and_saveexec_b64 s[12:13], s[2:3]
	s_cbranch_execz .LBB0_9
; %bb.8:
	ds_read_b128 v[164:167], v22 offset:7200
	ds_read_b128 v[156:159], v22 offset:14880
	;; [unrolled: 1-line block ×3, first 2 shown]
.LBB0_9:
	s_or_b64 exec, exec, s[12:13]
	buffer_load_dword v91, off, s[28:31], 0 ; 4-byte Folded Reload
	buffer_load_dword v92, off, s[28:31], 0 offset:4 ; 4-byte Folded Reload
	v_mov_b32_e32 v32, s5
	s_mov_b32 s17, 0xbfebb67a
	s_waitcnt vmcnt(1)
	v_add_co_u32_e32 v188, vcc, 0x10e, v91
	v_addc_co_u32_e64 v189, s[12:13], 0, 0, vcc
	v_add_co_u32_e32 v25, vcc, 0x168, v91
	s_waitcnt vmcnt(0)
	v_lshlrev_b64 v[28:29], 5, v[91:92]
	v_addc_co_u32_e64 v26, s[12:13], 0, 0, vcc
	v_add_co_u32_e32 v24, vcc, 0x1c2, v91
	v_addc_co_u32_e64 v27, s[12:13], 0, 0, vcc
	v_add_co_u32_e32 v190, vcc, s4, v28
	v_addc_co_u32_e32 v191, vcc, v32, v29, vcc
	global_load_dwordx4 v[40:43], v[190:191], off offset:2416
	global_load_dwordx4 v[44:47], v[190:191], off offset:2400
	s_movk_i32 s12, 0xffba
	s_waitcnt vmcnt(0) lgkmcnt(4)
	v_mul_f64 v[28:29], v[58:59], v[46:47]
	v_fma_f64 v[30:31], v[56:57], v[44:45], -v[28:29]
	v_mul_f64 v[28:29], v[56:57], v[46:47]
	buffer_store_dword v44, off, s[28:31], 0 offset:196 ; 4-byte Folded Spill
	s_nop 0
	buffer_store_dword v45, off, s[28:31], 0 offset:200 ; 4-byte Folded Spill
	buffer_store_dword v46, off, s[28:31], 0 offset:204 ; 4-byte Folded Spill
	;; [unrolled: 1-line block ×3, first 2 shown]
	v_fma_f64 v[34:35], v[58:59], v[44:45], v[28:29]
	v_mul_f64 v[28:29], v[54:55], v[42:43]
	v_fma_f64 v[38:39], v[52:53], v[40:41], -v[28:29]
	v_mul_f64 v[28:29], v[52:53], v[42:43]
	buffer_store_dword v40, off, s[28:31], 0 offset:180 ; 4-byte Folded Spill
	s_nop 0
	buffer_store_dword v41, off, s[28:31], 0 offset:184 ; 4-byte Folded Spill
	buffer_store_dword v42, off, s[28:31], 0 offset:188 ; 4-byte Folded Spill
	;; [unrolled: 1-line block ×3, first 2 shown]
	v_fma_f64 v[40:41], v[54:55], v[40:41], v[28:29]
	v_add_co_u32_e32 v28, vcc, s12, v91
	v_addc_co_u32_e64 v29, s[12:13], 0, -1, vcc
	s_movk_i32 s12, 0x46
	v_cmp_gt_u16_e32 vcc, s12, v91
	v_cndmask_b32_e32 v193, v29, v37, vcc
	v_cndmask_b32_e32 v192, v28, v36, vcc
	v_lshlrev_b64 v[28:29], 5, v[192:193]
	s_mov_b32 s12, 0xcccd
	v_add_co_u32_e32 v28, vcc, s4, v28
	v_addc_co_u32_e32 v29, vcc, v32, v29, vcc
	global_load_dwordx4 v[56:59], v[28:29], off offset:2416
	global_load_dwordx4 v[52:55], v[28:29], off offset:2400
	s_waitcnt vmcnt(0)
	v_mul_f64 v[28:29], v[82:83], v[54:55]
	v_fma_f64 v[43:44], v[80:81], v[52:53], -v[28:29]
	v_mul_f64 v[28:29], v[80:81], v[54:55]
	buffer_store_dword v52, off, s[28:31], 0 offset:244 ; 4-byte Folded Spill
	s_nop 0
	buffer_store_dword v53, off, s[28:31], 0 offset:248 ; 4-byte Folded Spill
	buffer_store_dword v54, off, s[28:31], 0 offset:252 ; 4-byte Folded Spill
	;; [unrolled: 1-line block ×3, first 2 shown]
	v_fma_f64 v[52:53], v[82:83], v[52:53], v[28:29]
	v_mul_f64 v[28:29], v[50:51], v[58:59]
	v_fma_f64 v[54:55], v[48:49], v[56:57], -v[28:29]
	v_mul_f64 v[28:29], v[48:49], v[58:59]
	buffer_store_dword v56, off, s[28:31], 0 offset:228 ; 4-byte Folded Spill
	s_nop 0
	buffer_store_dword v57, off, s[28:31], 0 offset:232 ; 4-byte Folded Spill
	buffer_store_dword v58, off, s[28:31], 0 offset:236 ; 4-byte Folded Spill
	;; [unrolled: 1-line block ×3, first 2 shown]
	global_load_dwordx4 v[67:70], v[190:191], off offset:3056
	global_load_dwordx4 v[76:79], v[190:191], off offset:3040
	v_fma_f64 v[47:48], v[50:51], v[56:57], v[28:29]
	v_add_f64 v[49:50], v[43:44], -v[54:55]
	s_waitcnt vmcnt(0)
	v_mul_f64 v[28:29], v[18:19], v[78:79]
	v_add_f64 v[45:46], v[52:53], -v[47:48]
	v_fma_f64 v[56:57], v[16:17], v[76:77], -v[28:29]
	v_mul_f64 v[16:17], v[16:17], v[78:79]
	buffer_store_dword v76, off, s[28:31], 0 offset:308 ; 4-byte Folded Spill
	s_nop 0
	buffer_store_dword v77, off, s[28:31], 0 offset:312 ; 4-byte Folded Spill
	buffer_store_dword v78, off, s[28:31], 0 offset:316 ; 4-byte Folded Spill
	;; [unrolled: 1-line block ×3, first 2 shown]
	v_fma_f64 v[58:59], v[18:19], v[76:77], v[16:17]
	v_mul_f64 v[16:17], v[114:115], v[69:70]
	v_fma_f64 v[65:66], v[112:113], v[67:68], -v[16:17]
	v_mul_f64 v[16:17], v[112:113], v[69:70]
	buffer_store_dword v67, off, s[28:31], 0 offset:212 ; 4-byte Folded Spill
	s_nop 0
	buffer_store_dword v68, off, s[28:31], 0 offset:216 ; 4-byte Folded Spill
	buffer_store_dword v69, off, s[28:31], 0 offset:220 ; 4-byte Folded Spill
	;; [unrolled: 1-line block ×3, first 2 shown]
	v_fma_f64 v[67:68], v[114:115], v[67:68], v[16:17]
	v_mul_u32_u24_sdwa v16, v188, s12 dst_sel:DWORD dst_unused:UNUSED_PAD src0_sel:WORD_0 src1_sel:DWORD
	v_lshrrev_b32_e32 v18, 23, v16
	v_mul_lo_u16_e32 v16, 0xa0, v18
	v_sub_u16_e32 v19, v188, v16
	v_lshlrev_b16_e32 v16, 5, v19
	v_add_co_u32_e32 v16, vcc, s4, v16
	v_addc_co_u32_e32 v17, vcc, 0, v32, vcc
	global_load_dwordx4 v[112:115], v[16:17], off offset:2416
	global_load_dwordx4 v[124:127], v[16:17], off offset:2400
	v_add_f64 v[89:90], v[58:59], -v[67:68]
	s_waitcnt vmcnt(0) lgkmcnt(2)
	v_mul_f64 v[16:17], v[14:15], v[126:127]
	v_fma_f64 v[16:17], v[12:13], v[124:125], -v[16:17]
	v_mul_f64 v[12:13], v[12:13], v[126:127]
	v_fma_f64 v[69:70], v[14:15], v[124:125], v[12:13]
	v_mul_f64 v[12:13], v[10:11], v[114:115]
	v_fma_f64 v[76:77], v[8:9], v[112:113], -v[12:13]
	v_mul_f64 v[8:9], v[8:9], v[114:115]
	v_add_f64 v[13:14], v[30:31], v[38:39]
	v_fma_f64 v[78:79], v[10:11], v[112:113], v[8:9]
	v_mul_u32_u24_sdwa v8, v25, s12 dst_sel:DWORD dst_unused:UNUSED_PAD src0_sel:WORD_0 src1_sel:DWORD
	v_lshrrev_b32_e32 v8, 23, v8
	v_mul_lo_u16_e32 v8, 0xa0, v8
	v_sub_u16_e32 v10, v25, v8
	v_lshlrev_b16_e32 v8, 5, v10
	v_add_co_u32_e32 v8, vcc, s4, v8
	v_addc_co_u32_e32 v9, vcc, 0, v32, vcc
	global_load_dwordx4 v[140:143], v[8:9], off offset:2416
	global_load_dwordx4 v[144:147], v[8:9], off offset:2400
	v_fma_f64 v[13:14], v[13:14], -0.5, v[184:185]
	s_waitcnt vmcnt(0) lgkmcnt(1)
	v_mul_f64 v[8:9], v[6:7], v[146:147]
	v_fma_f64 v[8:9], v[4:5], v[144:145], -v[8:9]
	v_mul_f64 v[4:5], v[4:5], v[146:147]
	v_fma_f64 v[4:5], v[6:7], v[144:145], v[4:5]
	s_waitcnt lgkmcnt(0)
	v_mul_f64 v[6:7], v[2:3], v[142:143]
	v_fma_f64 v[6:7], v[0:1], v[140:141], -v[6:7]
	v_mul_f64 v[0:1], v[0:1], v[142:143]
	v_fma_f64 v[0:1], v[2:3], v[140:141], v[0:1]
	v_mul_u32_u24_sdwa v2, v24, s12 dst_sel:DWORD dst_unused:UNUSED_PAD src0_sel:WORD_0 src1_sel:DWORD
	v_lshrrev_b32_e32 v2, 23, v2
	v_mul_lo_u16_e32 v2, 0xa0, v2
	v_sub_u16_e32 v2, v24, v2
	v_lshlrev_b16_e32 v3, 5, v2
	v_add_co_u32_e32 v11, vcc, s4, v3
	v_addc_co_u32_e32 v12, vcc, 0, v32, vcc
	global_load_dwordx4 v[148:151], v[11:12], off offset:2416
	global_load_dwordx4 v[152:155], v[11:12], off offset:2400
	v_add_f64 v[32:33], v[34:35], -v[40:41]
	s_mov_b32 s12, 0xe8584caa
	s_mov_b32 s13, 0x3febb67a
	;; [unrolled: 1-line block ×3, first 2 shown]
	s_waitcnt vmcnt(0)
	s_barrier
	v_fma_f64 v[28:29], v[32:33], s[12:13], v[13:14]
	v_fma_f64 v[32:33], v[32:33], s[16:17], v[13:14]
	v_add_f64 v[13:14], v[186:187], v[34:35]
	v_add_f64 v[34:35], v[34:35], v[40:41]
	;; [unrolled: 1-line block ×3, first 2 shown]
	v_fma_f64 v[34:35], v[34:35], -0.5, v[186:187]
	v_mul_f64 v[11:12], v[158:159], v[154:155]
	v_fma_f64 v[80:81], v[156:157], v[152:153], -v[11:12]
	v_mul_f64 v[11:12], v[156:157], v[154:155]
	v_fma_f64 v[82:83], v[158:159], v[152:153], v[11:12]
	v_mul_f64 v[11:12], v[162:163], v[150:151]
	v_fma_f64 v[84:85], v[160:161], v[148:149], -v[11:12]
	v_mul_f64 v[11:12], v[160:161], v[150:151]
	v_fma_f64 v[86:87], v[162:163], v[148:149], v[11:12]
	v_add_f64 v[11:12], v[184:185], v[30:31]
	v_add_f64 v[11:12], v[11:12], v[38:39]
	v_add_f64 v[37:38], v[30:31], -v[38:39]
	v_add_f64 v[39:40], v[43:44], v[54:55]
	v_fma_f64 v[30:31], v[37:38], s[16:17], v[34:35]
	v_fma_f64 v[39:40], v[39:40], -0.5, v[180:181]
	v_fma_f64 v[34:35], v[37:38], s[12:13], v[34:35]
	v_add_f64 v[37:38], v[180:181], v[43:44]
	ds_write_b128 v22, v[11:14]
	ds_write_b128 v22, v[28:31] offset:2560
	ds_write_b128 v22, v[32:35] offset:5120
	v_fma_f64 v[41:42], v[45:46], s[12:13], v[39:40]
	v_fma_f64 v[45:46], v[45:46], s[16:17], v[39:40]
	v_add_f64 v[39:40], v[182:183], v[52:53]
	v_add_f64 v[37:38], v[37:38], v[54:55]
	;; [unrolled: 1-line block ×5, first 2 shown]
	v_fma_f64 v[47:48], v[47:48], -0.5, v[182:183]
	v_fma_f64 v[51:52], v[51:52], -0.5, v[176:177]
	v_fma_f64 v[43:44], v[49:50], s[16:17], v[47:48]
	v_fma_f64 v[47:48], v[49:50], s[12:13], v[47:48]
	v_add_f64 v[49:50], v[176:177], v[56:57]
	v_fma_f64 v[53:54], v[89:90], s[12:13], v[51:52]
	v_fma_f64 v[156:157], v[89:90], s[16:17], v[51:52]
	v_add_f64 v[51:52], v[178:179], v[58:59]
	v_add_f64 v[58:59], v[58:59], v[67:68]
	;; [unrolled: 1-line block ×3, first 2 shown]
	v_add_f64 v[65:66], v[56:57], -v[65:66]
	v_add_f64 v[51:52], v[51:52], v[67:68]
	v_fma_f64 v[58:59], v[58:59], -0.5, v[178:179]
	v_fma_f64 v[55:56], v[65:66], s[16:17], v[58:59]
	v_fma_f64 v[158:159], v[65:66], s[12:13], v[58:59]
	v_add_f64 v[57:58], v[172:173], v[16:17]
	v_add_f64 v[65:66], v[69:70], -v[78:79]
	v_lshlrev_b32_e32 v59, 4, v10
	v_add_f64 v[160:161], v[57:58], v[76:77]
	v_add_f64 v[57:58], v[16:17], v[76:77]
	v_add_f64 v[15:16], v[16:17], -v[76:77]
	v_fma_f64 v[57:58], v[57:58], -0.5, v[172:173]
	v_fma_f64 v[172:173], v[65:66], s[12:13], v[57:58]
	v_fma_f64 v[176:177], v[65:66], s[16:17], v[57:58]
	v_add_f64 v[57:58], v[174:175], v[69:70]
	v_add_f64 v[162:163], v[57:58], v[78:79]
	;; [unrolled: 1-line block ×3, first 2 shown]
	v_fma_f64 v[57:58], v[57:58], -0.5, v[174:175]
	v_fma_f64 v[174:175], v[15:16], s[16:17], v[57:58]
	v_fma_f64 v[178:179], v[15:16], s[12:13], v[57:58]
	v_add_f64 v[15:16], v[168:169], v[8:9]
	v_add_f64 v[57:58], v[4:5], -v[0:1]
	v_add_f64 v[180:181], v[15:16], v[6:7]
	v_add_f64 v[15:16], v[8:9], v[6:7]
	v_fma_f64 v[15:16], v[15:16], -0.5, v[168:169]
	v_fma_f64 v[168:169], v[57:58], s[12:13], v[15:16]
	v_fma_f64 v[184:185], v[57:58], s[16:17], v[15:16]
	v_add_f64 v[15:16], v[170:171], v[4:5]
	v_add_f64 v[182:183], v[15:16], v[0:1]
	;; [unrolled: 1-line block ×3, first 2 shown]
	v_add_f64 v[3:4], v[8:9], -v[6:7]
	v_fma_f64 v[0:1], v[0:1], -0.5, v[170:171]
	v_fma_f64 v[170:171], v[3:4], s[16:17], v[0:1]
	v_fma_f64 v[186:187], v[3:4], s[12:13], v[0:1]
	v_add_f64 v[0:1], v[164:165], v[80:81]
	v_add_f64 v[3:4], v[82:83], -v[86:87]
	v_add_f64 v[228:229], v[0:1], v[84:85]
	v_add_f64 v[0:1], v[80:81], v[84:85]
	v_fma_f64 v[0:1], v[0:1], -0.5, v[164:165]
	v_fma_f64 v[212:213], v[3:4], s[12:13], v[0:1]
	v_fma_f64 v[220:221], v[3:4], s[16:17], v[0:1]
	v_add_f64 v[0:1], v[166:167], v[82:83]
	v_add_f64 v[3:4], v[80:81], -v[84:85]
	v_add_f64 v[230:231], v[0:1], v[86:87]
	v_add_f64 v[0:1], v[82:83], v[86:87]
	v_fma_f64 v[0:1], v[0:1], -0.5, v[166:167]
	v_fma_f64 v[214:215], v[3:4], s[16:17], v[0:1]
	v_fma_f64 v[222:223], v[3:4], s[12:13], v[0:1]
	s_movk_i32 s12, 0x45
	v_cmp_lt_u16_e32 vcc, s12, v91
	v_mov_b32_e32 v0, 0x1e0
	v_cndmask_b32_e32 v0, 0, v0, vcc
	s_movk_i32 s12, 0x1e0
	v_add_lshl_u32 v0, v192, v0, 4
	ds_write_b128 v0, v[37:40]
	ds_write_b128 v0, v[41:44] offset:2560
	buffer_store_dword v0, off, s[28:31], 0 offset:408 ; 4-byte Folded Spill
	ds_write_b128 v0, v[45:48] offset:5120
	ds_write_b128 v22, v[49:52] offset:8000
	;; [unrolled: 1-line block ×4, first 2 shown]
	v_mad_legacy_u16 v0, v18, s12, v19
	v_lshlrev_b32_e32 v0, 4, v0
	ds_write_b128 v0, v[160:163]
	ds_write_b128 v0, v[172:175] offset:2560
	buffer_store_dword v0, off, s[28:31], 0 offset:412 ; 4-byte Folded Spill
	ds_write_b128 v0, v[176:179] offset:5120
	v_lshlrev_b32_e32 v0, 4, v2
	ds_write_b128 v59, v[180:183] offset:15360
	ds_write_b128 v59, v[168:171] offset:17920
	;; [unrolled: 1-line block ×3, first 2 shown]
	buffer_store_dword v0, off, s[28:31], 0 offset:404 ; 4-byte Folded Spill
	s_and_saveexec_b64 s[12:13], s[2:3]
	s_cbranch_execz .LBB0_11
; %bb.10:
	buffer_load_dword v0, off, s[28:31], 0 offset:404 ; 4-byte Folded Reload
	s_waitcnt vmcnt(0)
	ds_write_b128 v0, v[228:231] offset:15360
	ds_write_b128 v0, v[212:215] offset:17920
	;; [unrolled: 1-line block ×3, first 2 shown]
.LBB0_11:
	s_or_b64 exec, exec, s[12:13]
	s_waitcnt vmcnt(0) lgkmcnt(0)
	s_barrier
	ds_read_b128 v[232:235], v22
	ds_read_b128 v[224:227], v22 offset:1440
	ds_read_b128 v[172:175], v22 offset:15360
	;; [unrolled: 1-line block ×14, first 2 shown]
	s_and_saveexec_b64 s[12:13], s[2:3]
	s_cbranch_execz .LBB0_13
; %bb.12:
	ds_read_b128 v[228:231], v22 offset:7200
	ds_read_b128 v[212:215], v22 offset:14880
	;; [unrolled: 1-line block ×3, first 2 shown]
.LBB0_13:
	s_or_b64 exec, exec, s[12:13]
	s_movk_i32 s12, 0x1d60
	v_add_co_u32_e32 v28, vcc, s12, v190
	v_addc_co_u32_e32 v29, vcc, 0, v191, vcc
	s_movk_i32 s16, 0x1000
	v_add_co_u32_e32 v30, vcc, s16, v190
	v_addc_co_u32_e32 v31, vcc, 0, v191, vcc
	global_load_dwordx4 v[164:167], v[30:31], off offset:3424
	global_load_dwordx4 v[168:171], v[28:29], off offset:16
	v_mov_b32_e32 v41, s5
	s_movk_i32 s5, 0xffe2
	s_mov_b32 s13, 0xbfebb67a
	s_waitcnt vmcnt(1) lgkmcnt(4)
	v_mul_f64 v[28:29], v[178:179], v[166:167]
	v_fma_f64 v[30:31], v[176:177], v[164:165], -v[28:29]
	v_mul_f64 v[28:29], v[176:177], v[166:167]
	v_fma_f64 v[32:33], v[178:179], v[164:165], v[28:29]
	s_waitcnt vmcnt(0)
	v_mul_f64 v[28:29], v[174:175], v[170:171]
	v_fma_f64 v[34:35], v[172:173], v[168:169], -v[28:29]
	v_mul_f64 v[28:29], v[172:173], v[170:171]
	v_fma_f64 v[37:38], v[174:175], v[168:169], v[28:29]
	v_lshlrev_b32_e32 v28, 5, v36
	v_add_co_u32_e32 v36, vcc, s4, v28
	v_addc_co_u32_e32 v40, vcc, 0, v41, vcc
	v_add_co_u32_e32 v28, vcc, s12, v36
	v_addc_co_u32_e32 v29, vcc, 0, v40, vcc
	;; [unrolled: 2-line block ×3, first 2 shown]
	global_load_dwordx4 v[176:179], v[39:40], off offset:3424
	global_load_dwordx4 v[172:175], v[28:29], off offset:16
	s_nop 0
	buffer_load_dword v39, off, s[28:31], 0 ; 4-byte Folded Reload
	buffer_load_dword v40, off, s[28:31], 0 offset:4 ; 4-byte Folded Reload
	s_waitcnt vmcnt(3)
	v_mul_f64 v[28:29], v[182:183], v[178:179]
	s_waitcnt vmcnt(1)
	v_mov_b32_e32 v52, v39
	v_fma_f64 v[42:43], v[180:181], v[176:177], -v[28:29]
	v_mul_f64 v[28:29], v[180:181], v[178:179]
	v_fma_f64 v[44:45], v[182:183], v[176:177], v[28:29]
	v_mul_f64 v[28:29], v[162:163], v[174:175]
	v_fma_f64 v[46:47], v[160:161], v[172:173], -v[28:29]
	v_mul_f64 v[28:29], v[160:161], v[174:175]
	v_fma_f64 v[48:49], v[162:163], v[172:173], v[28:29]
	v_mov_b32_e32 v28, 0x1680
	v_lshl_add_u32 v28, v52, 5, v28
	v_add_co_u32_e32 v36, vcc, s4, v28
	s_waitcnt vmcnt(0)
	v_addc_co_u32_e32 v40, vcc, 0, v41, vcc
	v_add_co_u32_e32 v28, vcc, s12, v36
	v_addc_co_u32_e32 v29, vcc, 0, v40, vcc
	v_add_co_u32_e32 v39, vcc, s16, v36
	v_addc_co_u32_e32 v40, vcc, 0, v40, vcc
	global_load_dwordx4 v[180:183], v[39:40], off offset:3424
	global_load_dwordx4 v[184:187], v[28:29], off offset:16
	s_waitcnt vmcnt(1)
	v_mul_f64 v[28:29], v[18:19], v[182:183]
	v_fma_f64 v[50:51], v[16:17], v[180:181], -v[28:29]
	v_mul_f64 v[16:17], v[16:17], v[182:183]
	v_fma_f64 v[18:19], v[18:19], v[180:181], v[16:17]
	s_waitcnt vmcnt(0)
	v_mul_f64 v[16:17], v[158:159], v[186:187]
	v_fma_f64 v[54:55], v[156:157], v[184:185], -v[16:17]
	v_mul_f64 v[16:17], v[156:157], v[186:187]
	v_fma_f64 v[56:57], v[158:159], v[184:185], v[16:17]
	v_lshlrev_b64 v[16:17], 5, v[188:189]
	v_add_co_u32_e32 v28, vcc, s4, v16
	v_addc_co_u32_e32 v29, vcc, v41, v17, vcc
	v_add_co_u32_e32 v16, vcc, s12, v28
	v_addc_co_u32_e32 v17, vcc, 0, v29, vcc
	;; [unrolled: 2-line block ×3, first 2 shown]
	global_load_dwordx4 v[192:195], v[28:29], off offset:3424
	global_load_dwordx4 v[188:191], v[16:17], off offset:16
	s_waitcnt vmcnt(1) lgkmcnt(2)
	v_mul_f64 v[16:17], v[14:15], v[194:195]
	v_fma_f64 v[16:17], v[12:13], v[192:193], -v[16:17]
	v_mul_f64 v[12:13], v[12:13], v[194:195]
	v_fma_f64 v[14:15], v[14:15], v[192:193], v[12:13]
	s_waitcnt vmcnt(0)
	v_mul_f64 v[12:13], v[10:11], v[190:191]
	v_fma_f64 v[65:66], v[8:9], v[188:189], -v[12:13]
	v_mul_f64 v[8:9], v[8:9], v[190:191]
	v_add_f64 v[12:13], v[30:31], v[34:35]
	v_fma_f64 v[67:68], v[10:11], v[188:189], v[8:9]
	v_lshlrev_b64 v[8:9], 5, v[25:26]
	v_fma_f64 v[12:13], v[12:13], -0.5, v[232:233]
	v_add_co_u32_e32 v10, vcc, s4, v8
	v_addc_co_u32_e32 v11, vcc, v41, v9, vcc
	v_add_co_u32_e32 v8, vcc, s12, v10
	v_addc_co_u32_e32 v9, vcc, 0, v11, vcc
	v_add_co_u32_e32 v10, vcc, s16, v10
	v_addc_co_u32_e32 v11, vcc, 0, v11, vcc
	global_load_dwordx4 v[196:199], v[10:11], off offset:3424
	global_load_dwordx4 v[200:203], v[8:9], off offset:16
	s_waitcnt vmcnt(1) lgkmcnt(1)
	v_mul_f64 v[8:9], v[6:7], v[198:199]
	v_fma_f64 v[8:9], v[4:5], v[196:197], -v[8:9]
	v_mul_f64 v[4:5], v[4:5], v[198:199]
	v_fma_f64 v[4:5], v[6:7], v[196:197], v[4:5]
	s_waitcnt vmcnt(0) lgkmcnt(0)
	v_mul_f64 v[6:7], v[2:3], v[202:203]
	v_fma_f64 v[6:7], v[0:1], v[200:201], -v[6:7]
	v_mul_f64 v[0:1], v[0:1], v[202:203]
	v_fma_f64 v[0:1], v[2:3], v[200:201], v[0:1]
	v_add_co_u32_e32 v2, vcc, s5, v52
	v_addc_co_u32_e64 v3, s[18:19], 0, -1, vcc
	v_cndmask_b32_e64 v3, v3, v27, s[2:3]
	v_cndmask_b32_e64 v2, v2, v24, s[2:3]
	v_lshlrev_b64 v[2:3], 5, v[2:3]
	v_add_f64 v[52:53], v[18:19], -v[56:57]
	v_add_co_u32_e32 v10, vcc, s4, v2
	v_addc_co_u32_e32 v11, vcc, v41, v3, vcc
	v_add_co_u32_e32 v2, vcc, s12, v10
	v_addc_co_u32_e32 v3, vcc, 0, v11, vcc
	v_add_co_u32_e32 v10, vcc, s16, v10
	v_addc_co_u32_e32 v11, vcc, 0, v11, vcc
	global_load_dwordx4 v[24:27], v[10:11], off offset:3424
	global_load_dwordx4 v[78:81], v[2:3], off offset:16
	s_mov_b32 s4, 0xe8584caa
	s_mov_b32 s5, 0x3febb67a
	;; [unrolled: 1-line block ×3, first 2 shown]
	s_waitcnt vmcnt(1)
	v_mul_f64 v[2:3], v[214:215], v[26:27]
	v_mul_f64 v[10:11], v[212:213], v[26:27]
	v_fma_f64 v[2:3], v[212:213], v[24:25], -v[2:3]
	buffer_store_dword v24, off, s[28:31], 0 offset:420 ; 4-byte Folded Spill
	s_nop 0
	buffer_store_dword v25, off, s[28:31], 0 offset:424 ; 4-byte Folded Spill
	buffer_store_dword v26, off, s[28:31], 0 offset:428 ; 4-byte Folded Spill
	;; [unrolled: 1-line block ×3, first 2 shown]
	v_add_f64 v[26:27], v[32:33], -v[37:38]
	v_fma_f64 v[28:29], v[26:27], s[12:13], v[12:13]
	v_fma_f64 v[69:70], v[214:215], v[24:25], v[10:11]
	s_waitcnt vmcnt(4)
	v_mul_f64 v[10:11], v[222:223], v[80:81]
	v_fma_f64 v[24:25], v[26:27], s[4:5], v[12:13]
	v_add_f64 v[26:27], v[32:33], v[37:38]
	v_add_f64 v[12:13], v[234:235], v[32:33]
	v_fma_f64 v[76:77], v[220:221], v[78:79], -v[10:11]
	v_mul_f64 v[10:11], v[220:221], v[80:81]
	buffer_store_dword v78, off, s[28:31], 0 offset:436 ; 4-byte Folded Spill
	s_nop 0
	buffer_store_dword v79, off, s[28:31], 0 offset:440 ; 4-byte Folded Spill
	buffer_store_dword v80, off, s[28:31], 0 offset:444 ; 4-byte Folded Spill
	;; [unrolled: 1-line block ×3, first 2 shown]
	v_fma_f64 v[32:33], v[26:27], -0.5, v[234:235]
	v_add_f64 v[12:13], v[12:13], v[37:38]
	v_add_f64 v[38:39], v[44:45], -v[48:49]
	v_fma_f64 v[78:79], v[222:223], v[78:79], v[10:11]
	v_add_f64 v[10:11], v[232:233], v[30:31]
	v_add_f64 v[30:31], v[30:31], -v[34:35]
	v_add_f64 v[10:11], v[10:11], v[34:35]
	v_add_f64 v[34:35], v[42:43], v[46:47]
	v_fma_f64 v[26:27], v[30:31], s[12:13], v[32:33]
	v_fma_f64 v[30:31], v[30:31], s[4:5], v[32:33]
	v_add_f64 v[32:33], v[224:225], v[42:43]
	v_add_f64 v[42:43], v[42:43], -v[46:47]
	v_fma_f64 v[34:35], v[34:35], -0.5, v[224:225]
	v_add_f64 v[32:33], v[32:33], v[46:47]
	v_add_f64 v[46:47], v[50:51], v[54:55]
	v_fma_f64 v[36:37], v[38:39], s[4:5], v[34:35]
	v_fma_f64 v[40:41], v[38:39], s[12:13], v[34:35]
	v_add_f64 v[38:39], v[44:45], v[48:49]
	v_add_f64 v[34:35], v[226:227], v[44:45]
	v_fma_f64 v[46:47], v[46:47], -0.5, v[208:209]
	v_fma_f64 v[44:45], v[38:39], -0.5, v[226:227]
	v_add_f64 v[34:35], v[34:35], v[48:49]
	v_fma_f64 v[48:49], v[52:53], s[4:5], v[46:47]
	v_fma_f64 v[52:53], v[52:53], s[12:13], v[46:47]
	v_add_f64 v[46:47], v[210:211], v[18:19]
	v_add_f64 v[18:19], v[18:19], v[56:57]
	v_fma_f64 v[38:39], v[42:43], s[12:13], v[44:45]
	v_fma_f64 v[42:43], v[42:43], s[4:5], v[44:45]
	v_add_f64 v[44:45], v[208:209], v[50:51]
	v_add_f64 v[46:47], v[46:47], v[56:57]
	v_fma_f64 v[18:19], v[18:19], -0.5, v[210:211]
	v_add_f64 v[56:57], v[14:15], -v[67:68]
	v_add_f64 v[44:45], v[44:45], v[54:55]
	v_add_f64 v[54:55], v[50:51], -v[54:55]
	v_fma_f64 v[50:51], v[54:55], s[12:13], v[18:19]
	v_fma_f64 v[54:55], v[54:55], s[4:5], v[18:19]
	v_add_f64 v[18:19], v[204:205], v[16:17]
	v_add_f64 v[156:157], v[18:19], v[65:66]
	;; [unrolled: 1-line block ×3, first 2 shown]
	v_add_f64 v[16:17], v[16:17], -v[65:66]
	v_fma_f64 v[18:19], v[18:19], -0.5, v[204:205]
	v_fma_f64 v[204:205], v[56:57], s[4:5], v[18:19]
	v_fma_f64 v[208:209], v[56:57], s[12:13], v[18:19]
	v_add_f64 v[18:19], v[206:207], v[14:15]
	v_add_f64 v[14:15], v[14:15], v[67:68]
	;; [unrolled: 1-line block ×3, first 2 shown]
	v_fma_f64 v[14:15], v[14:15], -0.5, v[206:207]
	v_fma_f64 v[206:207], v[16:17], s[12:13], v[14:15]
	v_fma_f64 v[210:211], v[16:17], s[4:5], v[14:15]
	v_add_f64 v[14:15], v[216:217], v[8:9]
	v_add_f64 v[16:17], v[4:5], -v[0:1]
	v_add_f64 v[212:213], v[14:15], v[6:7]
	v_add_f64 v[14:15], v[8:9], v[6:7]
	v_fma_f64 v[14:15], v[14:15], -0.5, v[216:217]
	v_fma_f64 v[216:217], v[16:17], s[4:5], v[14:15]
	v_fma_f64 v[220:221], v[16:17], s[12:13], v[14:15]
	v_add_f64 v[14:15], v[218:219], v[4:5]
	v_add_f64 v[214:215], v[14:15], v[0:1]
	v_add_f64 v[0:1], v[4:5], v[0:1]
	v_add_f64 v[4:5], v[8:9], -v[6:7]
	v_fma_f64 v[0:1], v[0:1], -0.5, v[218:219]
	v_fma_f64 v[218:219], v[4:5], s[12:13], v[0:1]
	v_fma_f64 v[222:223], v[4:5], s[4:5], v[0:1]
	v_add_f64 v[0:1], v[228:229], v[2:3]
	v_add_f64 v[4:5], v[69:70], -v[78:79]
	ds_write_b128 v22, v[10:13]
	ds_write_b128 v22, v[24:27] offset:7680
	ds_write_b128 v22, v[28:31] offset:15360
	;; [unrolled: 1-line block ×14, first 2 shown]
	v_add_f64 v[224:225], v[0:1], v[76:77]
	v_add_f64 v[0:1], v[2:3], v[76:77]
	v_add_f64 v[2:3], v[2:3], -v[76:77]
	v_fma_f64 v[0:1], v[0:1], -0.5, v[228:229]
	v_fma_f64 v[228:229], v[4:5], s[4:5], v[0:1]
	v_fma_f64 v[232:233], v[4:5], s[12:13], v[0:1]
	v_add_f64 v[0:1], v[230:231], v[69:70]
	v_add_f64 v[226:227], v[0:1], v[78:79]
	;; [unrolled: 1-line block ×3, first 2 shown]
	v_fma_f64 v[0:1], v[0:1], -0.5, v[230:231]
	v_fma_f64 v[230:231], v[2:3], s[12:13], v[0:1]
	v_fma_f64 v[234:235], v[2:3], s[4:5], v[0:1]
	s_and_saveexec_b64 s[4:5], s[2:3]
	s_cbranch_execz .LBB0_15
; %bb.14:
	ds_write_b128 v22, v[224:227] offset:7200
	ds_write_b128 v22, v[228:231] offset:14880
	;; [unrolled: 1-line block ×3, first 2 shown]
.LBB0_15:
	s_or_b64 exec, exec, s[4:5]
	s_waitcnt vmcnt(0) lgkmcnt(0)
	s_barrier
	ds_read_b128 v[2:5], v22
	buffer_load_dword v0, off, s[28:31], 0  ; 4-byte Folded Reload
	buffer_load_dword v1, off, s[28:31], 0 offset:4 ; 4-byte Folded Reload
	s_add_u32 s4, s14, 0x5a00
	s_addc_u32 s5, s15, 0
	s_waitcnt vmcnt(0)
	v_mov_b32_e32 v1, s5
	s_movk_i32 s12, 0x2000
	v_lshlrev_b32_e32 v14, 4, v0
	global_load_dwordx4 v[6:9], v14, s[4:5]
	v_add_co_u32_e32 v0, vcc, s4, v14
	v_addc_co_u32_e32 v1, vcc, 0, v1, vcc
	s_waitcnt vmcnt(0) lgkmcnt(0)
	v_mul_f64 v[10:11], v[4:5], v[8:9]
	v_fma_f64 v[10:11], v[2:3], v[6:7], -v[10:11]
	v_mul_f64 v[2:3], v[2:3], v[8:9]
	v_fma_f64 v[12:13], v[4:5], v[6:7], v[2:3]
	global_load_dwordx4 v[6:9], v14, s[4:5] offset:2304
	ds_read_b128 v[2:5], v22 offset:2304
	v_add_co_u32_e32 v14, vcc, s16, v0
	v_addc_co_u32_e32 v15, vcc, 0, v1, vcc
	ds_write_b128 v22, v[10:13]
	s_waitcnt vmcnt(0) lgkmcnt(1)
	v_mul_f64 v[10:11], v[4:5], v[8:9]
	v_fma_f64 v[10:11], v[2:3], v[6:7], -v[10:11]
	v_mul_f64 v[2:3], v[2:3], v[8:9]
	v_fma_f64 v[12:13], v[4:5], v[6:7], v[2:3]
	global_load_dwordx4 v[6:9], v[14:15], off offset:512
	ds_read_b128 v[2:5], v22 offset:4608
	ds_write_b128 v22, v[10:13] offset:2304
	s_waitcnt vmcnt(0) lgkmcnt(1)
	v_mul_f64 v[10:11], v[4:5], v[8:9]
	v_fma_f64 v[10:11], v[2:3], v[6:7], -v[10:11]
	v_mul_f64 v[2:3], v[2:3], v[8:9]
	v_fma_f64 v[12:13], v[4:5], v[6:7], v[2:3]
	global_load_dwordx4 v[6:9], v[14:15], off offset:2816
	ds_read_b128 v[2:5], v22 offset:6912
	ds_write_b128 v22, v[10:13] offset:4608
	s_waitcnt vmcnt(0) lgkmcnt(1)
	v_mul_f64 v[10:11], v[4:5], v[8:9]
	v_fma_f64 v[10:11], v[2:3], v[6:7], -v[10:11]
	v_mul_f64 v[2:3], v[2:3], v[8:9]
	v_fma_f64 v[12:13], v[4:5], v[6:7], v[2:3]
	v_add_co_u32_e32 v4, vcc, s12, v0
	v_addc_co_u32_e32 v5, vcc, 0, v1, vcc
	ds_read_b128 v[6:9], v22 offset:9216
	s_movk_i32 s12, 0x3000
	ds_write_b128 v22, v[10:13] offset:6912
	global_load_dwordx4 v[10:13], v[4:5], off offset:1024
	s_waitcnt vmcnt(0) lgkmcnt(1)
	v_mul_f64 v[2:3], v[8:9], v[12:13]
	v_fma_f64 v[14:15], v[6:7], v[10:11], -v[2:3]
	v_mul_f64 v[2:3], v[6:7], v[12:13]
	v_fma_f64 v[16:17], v[8:9], v[10:11], v[2:3]
	global_load_dwordx4 v[10:13], v[4:5], off offset:3328
	ds_read_b128 v[6:9], v22 offset:11520
	ds_write_b128 v22, v[14:17] offset:9216
	s_waitcnt vmcnt(0) lgkmcnt(1)
	v_mul_f64 v[2:3], v[8:9], v[12:13]
	v_fma_f64 v[14:15], v[6:7], v[10:11], -v[2:3]
	v_mul_f64 v[2:3], v[6:7], v[12:13]
	v_fma_f64 v[16:17], v[8:9], v[10:11], v[2:3]
	v_add_co_u32_e32 v2, vcc, s12, v0
	v_addc_co_u32_e32 v3, vcc, 0, v1, vcc
	global_load_dwordx4 v[10:13], v[2:3], off offset:1536
	ds_read_b128 v[6:9], v22 offset:13824
	ds_write_b128 v22, v[14:17] offset:11520
	s_waitcnt vmcnt(0) lgkmcnt(1)
	v_mul_f64 v[14:15], v[8:9], v[12:13]
	v_fma_f64 v[14:15], v[6:7], v[10:11], -v[14:15]
	v_mul_f64 v[6:7], v[6:7], v[12:13]
	v_fma_f64 v[16:17], v[8:9], v[10:11], v[6:7]
	global_load_dwordx4 v[10:13], v[2:3], off offset:3840
	ds_read_b128 v[6:9], v22 offset:16128
	ds_write_b128 v22, v[14:17] offset:13824
	s_waitcnt vmcnt(0) lgkmcnt(1)
	v_mul_f64 v[14:15], v[8:9], v[12:13]
	v_fma_f64 v[14:15], v[6:7], v[10:11], -v[14:15]
	v_mul_f64 v[6:7], v[6:7], v[12:13]
	v_fma_f64 v[16:17], v[8:9], v[10:11], v[6:7]
	global_load_dwordx4 v[10:13], v23, s[4:5]
	ds_read_b128 v[6:9], v22 offset:18432
	s_movk_i32 s4, 0x5000
	ds_write_b128 v22, v[14:17] offset:16128
	s_waitcnt vmcnt(0) lgkmcnt(1)
	v_mul_f64 v[14:15], v[8:9], v[12:13]
	v_fma_f64 v[14:15], v[6:7], v[10:11], -v[14:15]
	v_mul_f64 v[6:7], v[6:7], v[12:13]
	v_fma_f64 v[16:17], v[8:9], v[10:11], v[6:7]
	v_add_co_u32_e32 v6, vcc, s4, v0
	v_addc_co_u32_e32 v7, vcc, 0, v1, vcc
	ds_read_b128 v[8:11], v22 offset:20736
	ds_write_b128 v22, v[14:17] offset:18432
	global_load_dwordx4 v[12:15], v[6:7], off offset:256
	s_waitcnt vmcnt(0) lgkmcnt(1)
	v_mul_f64 v[16:17], v[10:11], v[14:15]
	v_fma_f64 v[16:17], v[8:9], v[12:13], -v[16:17]
	v_mul_f64 v[8:9], v[8:9], v[14:15]
	v_fma_f64 v[18:19], v[10:11], v[12:13], v[8:9]
	ds_write_b128 v22, v[16:19] offset:20736
	s_and_saveexec_b64 s[4:5], s[0:1]
	s_cbranch_execz .LBB0_17
; %bb.16:
	global_load_dwordx4 v[12:15], v[0:1], off offset:1440
	ds_read_b128 v[8:11], v22 offset:1440
	s_movk_i32 s12, 0x1000
	s_waitcnt vmcnt(0) lgkmcnt(0)
	v_mul_f64 v[16:17], v[10:11], v[14:15]
	v_fma_f64 v[16:17], v[8:9], v[12:13], -v[16:17]
	v_mul_f64 v[8:9], v[8:9], v[14:15]
	v_fma_f64 v[18:19], v[10:11], v[12:13], v[8:9]
	global_load_dwordx4 v[12:15], v[0:1], off offset:3744
	ds_read_b128 v[8:11], v22 offset:3744
	ds_write_b128 v22, v[16:19] offset:1440
	s_waitcnt vmcnt(0) lgkmcnt(1)
	v_mul_f64 v[16:17], v[10:11], v[14:15]
	v_fma_f64 v[16:17], v[8:9], v[12:13], -v[16:17]
	v_mul_f64 v[8:9], v[8:9], v[14:15]
	v_fma_f64 v[18:19], v[10:11], v[12:13], v[8:9]
	v_add_co_u32_e32 v12, vcc, s12, v0
	v_addc_co_u32_e32 v13, vcc, 0, v1, vcc
	global_load_dwordx4 v[12:15], v[12:13], off offset:1952
	ds_read_b128 v[8:11], v22 offset:6048
	s_movk_i32 s12, 0x4000
	ds_write_b128 v22, v[16:19] offset:3744
	s_waitcnt vmcnt(0) lgkmcnt(1)
	v_mul_f64 v[16:17], v[10:11], v[14:15]
	v_fma_f64 v[16:17], v[8:9], v[12:13], -v[16:17]
	v_mul_f64 v[8:9], v[8:9], v[14:15]
	v_fma_f64 v[18:19], v[10:11], v[12:13], v[8:9]
	global_load_dwordx4 v[12:15], v[4:5], off offset:160
	ds_read_b128 v[8:11], v22 offset:8352
	ds_write_b128 v22, v[16:19] offset:6048
	s_waitcnt vmcnt(0) lgkmcnt(1)
	v_mul_f64 v[16:17], v[10:11], v[14:15]
	v_fma_f64 v[16:17], v[8:9], v[12:13], -v[16:17]
	v_mul_f64 v[8:9], v[8:9], v[14:15]
	v_fma_f64 v[18:19], v[10:11], v[12:13], v[8:9]
	global_load_dwordx4 v[12:15], v[4:5], off offset:2464
	ds_read_b128 v[8:11], v22 offset:10656
	;; [unrolled: 8-line block ×4, first 2 shown]
	ds_write_b128 v22, v[16:19] offset:12960
	s_waitcnt vmcnt(0) lgkmcnt(1)
	v_mul_f64 v[12:13], v[10:11], v[4:5]
	v_mul_f64 v[4:5], v[8:9], v[4:5]
	v_fma_f64 v[12:13], v[8:9], v[2:3], -v[12:13]
	v_fma_f64 v[14:15], v[10:11], v[2:3], v[4:5]
	ds_read_b128 v[2:5], v22 offset:17568
	ds_write_b128 v22, v[12:15] offset:15264
	v_add_co_u32_e32 v12, vcc, s12, v0
	v_addc_co_u32_e32 v13, vcc, 0, v1, vcc
	global_load_dwordx4 v[8:11], v[12:13], off offset:1184
	s_waitcnt vmcnt(0) lgkmcnt(1)
	v_mul_f64 v[0:1], v[4:5], v[10:11]
	v_fma_f64 v[0:1], v[2:3], v[8:9], -v[0:1]
	v_mul_f64 v[2:3], v[2:3], v[10:11]
	v_fma_f64 v[2:3], v[4:5], v[8:9], v[2:3]
	global_load_dwordx4 v[8:11], v[12:13], off offset:3488
	ds_write_b128 v22, v[0:3] offset:17568
	ds_read_b128 v[0:3], v22 offset:19872
	s_waitcnt vmcnt(0) lgkmcnt(0)
	v_mul_f64 v[4:5], v[2:3], v[10:11]
	v_fma_f64 v[12:13], v[0:1], v[8:9], -v[4:5]
	global_load_dwordx4 v[4:7], v[6:7], off offset:1696
	v_mul_f64 v[0:1], v[0:1], v[10:11]
	v_fma_f64 v[14:15], v[2:3], v[8:9], v[0:1]
	ds_read_b128 v[0:3], v22 offset:22176
	ds_write_b128 v22, v[12:15] offset:19872
	s_waitcnt vmcnt(0) lgkmcnt(1)
	v_mul_f64 v[8:9], v[2:3], v[6:7]
	v_fma_f64 v[8:9], v[0:1], v[4:5], -v[8:9]
	v_mul_f64 v[0:1], v[0:1], v[6:7]
	v_fma_f64 v[10:11], v[2:3], v[4:5], v[0:1]
	ds_write_b128 v22, v[8:11] offset:22176
.LBB0_17:
	s_or_b64 exec, exec, s[4:5]
	s_waitcnt lgkmcnt(0)
	s_barrier
	ds_read_b128 v[4:7], v22
	ds_read_b128 v[252:255], v22 offset:2304
	ds_read_b128 v[0:3], v22 offset:4608
	;; [unrolled: 1-line block ×9, first 2 shown]
	s_and_saveexec_b64 s[4:5], s[0:1]
	s_cbranch_execz .LBB0_19
; %bb.18:
	ds_read_b128 v[204:207], v22 offset:1440
	ds_read_b128 v[208:211], v22 offset:3744
	;; [unrolled: 1-line block ×10, first 2 shown]
.LBB0_19:
	s_or_b64 exec, exec, s[4:5]
	s_waitcnt lgkmcnt(7)
	v_add_f64 v[23:24], v[4:5], v[0:1]
	s_waitcnt lgkmcnt(1)
	v_add_f64 v[31:32], v[2:3], -v[18:19]
	s_mov_b32 s16, 0x134454ff
	s_mov_b32 s17, 0xbfee6f0e
	;; [unrolled: 1-line block ×4, first 2 shown]
	v_add_f64 v[33:34], v[10:11], -v[14:15]
	v_add_f64 v[29:30], v[0:1], -v[8:9]
	v_add_f64 v[23:24], v[23:24], v[8:9]
	v_add_f64 v[35:36], v[16:17], -v[12:13]
	s_mov_b32 s18, 0x4755a5e
	s_mov_b32 s19, 0xbfe2cf23
	;; [unrolled: 1-line block ×6, first 2 shown]
	v_add_f64 v[23:24], v[23:24], v[12:13]
	v_add_f64 v[29:30], v[29:30], v[35:36]
	v_add_f64 v[35:36], v[8:9], -v[0:1]
	v_add_f64 v[37:38], v[12:13], -v[16:17]
	s_waitcnt lgkmcnt(0)
	v_add_f64 v[39:40], v[244:245], -v[248:249]
	v_add_f64 v[41:42], v[240:241], -v[244:245]
	;; [unrolled: 1-line block ×4, first 2 shown]
	v_add_f64 v[25:26], v[23:24], v[16:17]
	v_add_f64 v[23:24], v[8:9], v[12:13]
	v_add_f64 v[8:9], v[8:9], -v[12:13]
	v_add_f64 v[35:36], v[35:36], v[37:38]
	v_add_f64 v[37:38], v[240:241], -v[236:237]
	v_add_f64 v[47:48], v[242:243], -v[238:239]
	v_add_f64 v[49:50], v[246:247], -v[250:251]
	v_add_f64 v[43:44], v[43:44], v[45:46]
	s_mov_b32 s24, 0x9b97f4a8
	v_fma_f64 v[23:24], v[23:24], -0.5, v[4:5]
	s_mov_b32 s25, 0x3fe9e377
	s_mov_b32 s21, 0xbfd3c6ef
	v_add_f64 v[37:38], v[37:38], v[39:40]
	s_mov_b32 s20, s14
	v_add_f64 v[47:48], v[47:48], v[49:50]
	s_mov_b32 s23, 0xbfe9e377
	s_mov_b32 s22, s24
	v_fma_f64 v[27:28], v[31:32], s[16:17], v[23:24]
	v_fma_f64 v[23:24], v[31:32], s[4:5], v[23:24]
	v_add_f64 v[158:159], v[226:227], -v[234:235]
	v_add_f64 v[51:52], v[74:75], -v[234:235]
	;; [unrolled: 1-line block ×3, first 2 shown]
	s_barrier
	v_fma_f64 v[27:28], v[33:34], s[18:19], v[27:28]
	v_fma_f64 v[23:24], v[33:34], s[12:13], v[23:24]
	;; [unrolled: 1-line block ×4, first 2 shown]
	v_add_f64 v[23:24], v[0:1], v[16:17]
	v_add_f64 v[0:1], v[0:1], -v[16:17]
	v_fma_f64 v[4:5], v[23:24], -0.5, v[4:5]
	v_fma_f64 v[23:24], v[33:34], s[4:5], v[4:5]
	v_fma_f64 v[4:5], v[33:34], s[16:17], v[4:5]
	v_add_f64 v[33:34], v[10:11], v[14:15]
	v_fma_f64 v[23:24], v[31:32], s[18:19], v[23:24]
	v_fma_f64 v[4:5], v[31:32], s[12:13], v[4:5]
	v_fma_f64 v[33:34], v[33:34], -0.5, v[6:7]
	v_add_f64 v[31:32], v[6:7], v[2:3]
	v_fma_f64 v[23:24], v[35:36], s[14:15], v[23:24]
	v_fma_f64 v[4:5], v[35:36], s[14:15], v[4:5]
	v_fma_f64 v[16:17], v[0:1], s[4:5], v[33:34]
	v_add_f64 v[35:36], v[18:19], -v[14:15]
	v_fma_f64 v[33:34], v[0:1], s[16:17], v[33:34]
	v_add_f64 v[31:32], v[31:32], v[10:11]
	v_fma_f64 v[12:13], v[8:9], s[12:13], v[16:17]
	v_add_f64 v[16:17], v[2:3], -v[10:11]
	v_fma_f64 v[33:34], v[8:9], s[18:19], v[33:34]
	v_add_f64 v[31:32], v[31:32], v[14:15]
	v_add_f64 v[16:17], v[16:17], v[35:36]
	v_add_f64 v[35:36], v[248:249], -v[244:245]
	v_add_f64 v[31:32], v[31:32], v[18:19]
	v_fma_f64 v[12:13], v[16:17], s[14:15], v[12:13]
	v_fma_f64 v[16:17], v[16:17], s[14:15], v[33:34]
	v_add_f64 v[33:34], v[2:3], v[18:19]
	v_add_f64 v[2:3], v[10:11], -v[2:3]
	v_add_f64 v[10:11], v[14:15], -v[18:19]
	;; [unrolled: 1-line block ×3, first 2 shown]
	v_fma_f64 v[6:7], v[33:34], -0.5, v[6:7]
	v_add_f64 v[2:3], v[2:3], v[10:11]
	v_fma_f64 v[33:34], v[8:9], s[16:17], v[6:7]
	v_fma_f64 v[6:7], v[8:9], s[4:5], v[6:7]
	v_add_f64 v[8:9], v[238:239], -v[250:251]
	v_fma_f64 v[33:34], v[0:1], s[12:13], v[33:34]
	v_fma_f64 v[0:1], v[0:1], s[18:19], v[6:7]
	v_add_f64 v[6:7], v[240:241], v[244:245]
	v_fma_f64 v[10:11], v[2:3], s[14:15], v[33:34]
	v_add_f64 v[33:34], v[236:237], -v[240:241]
	v_fma_f64 v[6:7], v[6:7], -0.5, v[252:253]
	v_fma_f64 v[0:1], v[2:3], s[14:15], v[0:1]
	v_add_f64 v[2:3], v[252:253], v[236:237]
	v_add_f64 v[33:34], v[33:34], v[35:36]
	v_fma_f64 v[14:15], v[8:9], s[16:17], v[6:7]
	v_fma_f64 v[6:7], v[8:9], s[4:5], v[6:7]
	v_add_f64 v[2:3], v[2:3], v[240:241]
	v_fma_f64 v[14:15], v[18:19], s[18:19], v[14:15]
	v_fma_f64 v[6:7], v[18:19], s[12:13], v[6:7]
	v_add_f64 v[2:3], v[2:3], v[244:245]
	v_fma_f64 v[14:15], v[33:34], s[14:15], v[14:15]
	v_fma_f64 v[6:7], v[33:34], s[14:15], v[6:7]
	v_add_f64 v[33:34], v[236:237], v[248:249]
	v_add_f64 v[2:3], v[2:3], v[248:249]
	v_fma_f64 v[33:34], v[33:34], -0.5, v[252:253]
	v_add_f64 v[244:245], v[25:26], v[2:3]
	v_add_f64 v[84:85], v[25:26], -v[2:3]
	v_add_f64 v[2:3], v[212:213], -v[220:221]
	v_fma_f64 v[35:36], v[18:19], s[4:5], v[33:34]
	v_fma_f64 v[18:19], v[18:19], s[16:17], v[33:34]
	v_add_f64 v[33:34], v[242:243], v[246:247]
	v_fma_f64 v[35:36], v[8:9], s[18:19], v[35:36]
	v_fma_f64 v[8:9], v[8:9], s[12:13], v[18:19]
	v_fma_f64 v[33:34], v[33:34], -0.5, v[254:255]
	v_add_f64 v[18:19], v[254:255], v[238:239]
	v_fma_f64 v[35:36], v[37:38], s[14:15], v[35:36]
	v_fma_f64 v[8:9], v[37:38], s[14:15], v[8:9]
	v_add_f64 v[37:38], v[236:237], -v[248:249]
	v_add_f64 v[18:19], v[18:19], v[242:243]
	v_fma_f64 v[39:40], v[37:38], s[4:5], v[33:34]
	v_fma_f64 v[33:34], v[37:38], s[16:17], v[33:34]
	v_add_f64 v[18:19], v[18:19], v[246:247]
	v_fma_f64 v[39:40], v[41:42], s[12:13], v[39:40]
	v_fma_f64 v[33:34], v[41:42], s[18:19], v[33:34]
	;; [unrolled: 3-line block ×3, first 2 shown]
	v_add_f64 v[43:44], v[238:239], v[250:251]
	v_add_f64 v[246:247], v[31:32], v[18:19]
	v_add_f64 v[86:87], v[31:32], -v[18:19]
	v_add_f64 v[31:32], v[220:221], -v[228:229]
	v_mul_f64 v[49:50], v[33:34], s[18:19]
	v_fma_f64 v[43:44], v[43:44], -0.5, v[254:255]
	v_mul_f64 v[33:34], v[33:34], s[22:23]
	v_fma_f64 v[49:50], v[6:7], s[22:23], v[49:50]
	v_fma_f64 v[45:46], v[41:42], s[16:17], v[43:44]
	;; [unrolled: 1-line block ×4, first 2 shown]
	v_add_f64 v[80:81], v[29:30], v[49:50]
	v_fma_f64 v[45:46], v[37:38], s[12:13], v[45:46]
	v_fma_f64 v[37:38], v[37:38], s[18:19], v[41:42]
	v_mul_f64 v[41:42], v[39:40], s[18:19]
	v_add_f64 v[97:98], v[29:30], -v[49:50]
	v_add_f64 v[82:83], v[16:17], v[6:7]
	v_add_f64 v[99:100], v[16:17], -v[6:7]
	v_add_f64 v[6:7], v[60:61], -v[228:229]
	v_fma_f64 v[45:46], v[47:48], s[14:15], v[45:46]
	v_fma_f64 v[37:38], v[47:48], s[14:15], v[37:38]
	;; [unrolled: 1-line block ×3, first 2 shown]
	v_mul_f64 v[14:15], v[14:15], s[12:13]
	v_add_f64 v[16:17], v[6:7], v[2:3]
	v_add_f64 v[2:3], v[60:61], v[212:213]
	v_mul_f64 v[43:44], v[45:46], s[16:17]
	v_mul_f64 v[47:48], v[37:38], s[16:17]
	;; [unrolled: 1-line block ×3, first 2 shown]
	v_fma_f64 v[14:15], v[39:40], s[24:25], v[14:15]
	v_mul_f64 v[39:40], v[45:46], s[14:15]
	v_add_f64 v[248:249], v[27:28], v[41:42]
	v_add_f64 v[65:66], v[27:28], -v[41:42]
	v_add_f64 v[41:42], v[72:73], -v[232:233]
	v_fma_f64 v[43:44], v[35:36], s[14:15], v[43:44]
	v_fma_f64 v[47:48], v[8:9], s[20:21], v[47:48]
	v_fma_f64 v[8:9], v[8:9], s[4:5], v[37:38]
	v_add_f64 v[37:38], v[218:219], -v[74:75]
	v_fma_f64 v[35:36], v[35:36], s[4:5], v[39:40]
	v_add_f64 v[39:40], v[216:217], -v[224:225]
	v_add_f64 v[45:46], v[224:225], -v[232:233]
	v_add_f64 v[250:251], v[12:13], v[14:15]
	v_add_f64 v[252:253], v[23:24], v[43:44]
	v_add_f64 v[89:90], v[23:24], -v[43:44]
	v_add_f64 v[78:79], v[0:1], v[8:9]
	v_add_f64 v[95:96], v[0:1], -v[8:9]
	;; [unrolled: 2-line block ×3, first 2 shown]
	v_add_f64 v[8:9], v[220:221], -v[212:213]
	v_add_f64 v[10:11], v[228:229], -v[60:61]
	;; [unrolled: 1-line block ×4, first 2 shown]
	v_add_f64 v[162:163], v[41:42], v[39:40]
	v_add_f64 v[76:77], v[4:5], v[47:48]
	v_add_f64 v[93:94], v[4:5], -v[47:48]
	v_add_f64 v[41:42], v[232:233], -v[72:73]
	v_add_f64 v[43:44], v[216:217], -v[72:73]
	v_add_f64 v[18:19], v[10:11], v[8:9]
	v_add_f64 v[10:11], v[214:215], -v[222:223]
	v_add_f64 v[0:1], v[228:229], v[220:221]
	v_add_f64 v[8:9], v[230:231], v[222:223]
	v_add_f64 v[67:68], v[12:13], -v[14:15]
	v_add_f64 v[12:13], v[214:215], -v[62:63]
	;; [unrolled: 1-line block ×3, first 2 shown]
	v_fma_f64 v[6:7], v[2:3], -0.5, v[204:205]
	v_add_f64 v[27:28], v[212:213], -v[60:61]
	v_add_f64 v[33:34], v[23:24], v[10:11]
	v_add_f64 v[23:24], v[222:223], -v[214:215]
	v_add_f64 v[10:11], v[62:63], v[214:215]
	v_fma_f64 v[4:5], v[0:1], -0.5, v[204:205]
	v_fma_f64 v[25:26], v[8:9], -0.5, v[206:207]
	ds_write_b128 v88, v[244:247]
	ds_write_b128 v88, v[248:251] offset:16
	ds_write_b128 v88, v[252:255] offset:32
	;; [unrolled: 1-line block ×9, first 2 shown]
	v_fma_f64 v[2:3], v[14:15], s[4:5], v[6:7]
	v_add_f64 v[23:24], v[35:36], v[23:24]
	v_add_f64 v[35:36], v[224:225], v[232:233]
	v_fma_f64 v[29:30], v[10:11], -0.5, v[206:207]
	v_fma_f64 v[0:1], v[12:13], s[16:17], v[4:5]
	v_fma_f64 v[8:9], v[27:28], s[4:5], v[25:26]
	;; [unrolled: 1-line block ×3, first 2 shown]
	v_fma_f64 v[160:161], v[35:36], -0.5, v[208:209]
	v_fma_f64 v[10:11], v[31:32], s[16:17], v[29:30]
	v_fma_f64 v[0:1], v[14:15], s[18:19], v[0:1]
	v_fma_f64 v[8:9], v[31:32], s[12:13], v[8:9]
	v_fma_f64 v[2:3], v[18:19], s[14:15], v[2:3]
	v_fma_f64 v[35:36], v[37:38], s[16:17], v[160:161]
	v_fma_f64 v[10:11], v[27:28], s[12:13], v[10:11]
	v_fma_f64 v[0:1], v[16:17], s[14:15], v[0:1]
	v_fma_f64 v[8:9], v[33:34], s[14:15], v[8:9]
	v_fma_f64 v[35:36], v[158:159], s[18:19], v[35:36]
	v_fma_f64 v[10:11], v[23:24], s[14:15], v[10:11]
	v_fma_f64 v[47:48], v[162:163], s[14:15], v[35:36]
	v_add_f64 v[35:36], v[72:73], v[216:217]
	v_fma_f64 v[156:157], v[35:36], -0.5, v[208:209]
	v_fma_f64 v[35:36], v[158:159], s[4:5], v[156:157]
	v_fma_f64 v[39:40], v[37:38], s[18:19], v[35:36]
	v_add_f64 v[35:36], v[224:225], -v[216:217]
	v_add_f64 v[35:36], v[41:42], v[35:36]
	v_add_f64 v[41:42], v[218:219], -v[226:227]
	v_fma_f64 v[55:56], v[35:36], s[14:15], v[39:40]
	v_add_f64 v[39:40], v[226:227], v[234:235]
	v_add_f64 v[51:52], v[51:52], v[41:42]
	v_add_f64 v[41:42], v[226:227], -v[218:219]
	v_fma_f64 v[49:50], v[39:40], -0.5, v[210:211]
	v_add_f64 v[57:58], v[57:58], v[41:42]
	v_fma_f64 v[39:40], v[43:44], s[4:5], v[49:50]
	v_fma_f64 v[39:40], v[45:46], s[12:13], v[39:40]
	v_fma_f64 v[69:70], v[51:52], s[14:15], v[39:40]
	v_add_f64 v[39:40], v[74:75], v[218:219]
	v_fma_f64 v[53:54], v[39:40], -0.5, v[210:211]
	v_fma_f64 v[39:40], v[45:46], s[16:17], v[53:54]
	v_fma_f64 v[39:40], v[43:44], s[12:13], v[39:40]
	;; [unrolled: 1-line block ×3, first 2 shown]
	v_mul_f64 v[39:40], v[69:70], s[18:19]
	v_mul_f64 v[69:70], v[69:70], s[24:25]
	;; [unrolled: 1-line block ×3, first 2 shown]
	v_fma_f64 v[39:40], v[47:48], s[24:25], v[39:40]
	v_fma_f64 v[47:48], v[47:48], s[12:13], v[69:70]
	v_mul_f64 v[69:70], v[101:102], s[14:15]
	v_fma_f64 v[41:42], v[55:56], s[14:15], v[41:42]
	v_add_f64 v[236:237], v[0:1], -v[39:40]
	v_add_f64 v[238:239], v[8:9], -v[47:48]
	v_fma_f64 v[55:56], v[55:56], s[4:5], v[69:70]
	v_add_f64 v[240:241], v[2:3], -v[41:42]
	v_add_f64 v[242:243], v[10:11], -v[55:56]
	s_and_saveexec_b64 s[16:17], s[0:1]
	s_cbranch_execz .LBB0_21
; %bb.20:
	v_mul_f64 v[67:68], v[43:44], s[4:5]
	v_mul_f64 v[78:79], v[45:46], s[12:13]
	;; [unrolled: 1-line block ×8, first 2 shown]
	v_add_f64 v[49:50], v[49:50], -v[67:68]
	v_mul_f64 v[67:68], v[27:28], s[4:5]
	v_add_f64 v[45:46], v[45:46], v[53:54]
	v_mul_f64 v[37:38], v[37:38], s[12:13]
	v_mul_f64 v[65:66], v[12:13], s[4:5]
	;; [unrolled: 1-line block ×5, first 2 shown]
	v_add_f64 v[49:50], v[49:50], -v[78:79]
	v_add_f64 v[25:26], v[25:26], -v[67:68]
	v_mul_f64 v[67:68], v[158:159], s[4:5]
	v_add_f64 v[43:44], v[45:46], -v[43:44]
	v_add_f64 v[45:46], v[214:215], v[206:207]
	v_add_f64 v[76:77], v[76:77], v[160:161]
	v_mul_f64 v[35:36], v[35:36], s[14:15]
	v_mul_f64 v[12:13], v[12:13], s[12:13]
	v_add_f64 v[49:50], v[51:52], v[49:50]
	v_mul_f64 v[51:52], v[57:58], s[14:15]
	v_add_f64 v[25:26], v[25:26], -v[80:81]
	v_add_f64 v[57:58], v[156:157], -v[67:68]
	v_add_f64 v[67:68], v[218:219], v[210:211]
	v_mul_f64 v[31:32], v[31:32], s[4:5]
	v_mul_f64 v[78:79], v[162:163], s[14:15]
	v_add_f64 v[76:77], v[82:83], v[76:77]
	v_add_f64 v[4:5], v[65:66], v[4:5]
	v_add_f64 v[6:7], v[6:7], -v[14:15]
	v_add_f64 v[25:26], v[33:34], v[25:26]
	v_add_f64 v[33:34], v[37:38], v[57:58]
	;; [unrolled: 1-line block ×5, first 2 shown]
	v_mul_f64 v[16:17], v[16:17], s[14:15]
	v_mul_f64 v[18:19], v[18:19], s[14:15]
	;; [unrolled: 1-line block ×3, first 2 shown]
	v_add_f64 v[29:30], v[31:32], v[29:30]
	v_add_f64 v[33:34], v[35:36], v[33:34]
	v_mul_f64 v[35:36], v[37:38], s[20:21]
	v_add_f64 v[43:44], v[230:231], v[43:44]
	v_add_f64 v[45:46], v[234:235], v[45:46]
	v_add_f64 v[31:32], v[78:79], v[76:77]
	v_mul_f64 v[53:54], v[49:50], s[22:23]
	v_add_f64 v[4:5], v[69:70], v[4:5]
	v_add_f64 v[27:28], v[29:30], -v[27:28]
	v_mul_f64 v[23:24], v[23:24], s[14:15]
	v_fma_f64 v[14:15], v[33:34], s[4:5], v[35:36]
	v_add_f64 v[35:36], v[62:63], v[43:44]
	v_add_f64 v[43:44], v[74:75], v[45:46]
	;; [unrolled: 1-line block ×3, first 2 shown]
	v_fma_f64 v[29:30], v[31:32], s[12:13], v[53:54]
	v_add_f64 v[53:54], v[16:17], v[4:5]
	v_add_f64 v[51:52], v[216:217], v[208:209]
	;; [unrolled: 1-line block ×4, first 2 shown]
	v_mul_f64 v[49:50], v[49:50], s[12:13]
	v_add_f64 v[16:17], v[35:36], -v[43:44]
	v_add_f64 v[18:19], v[18:19], v[45:46]
	v_add_f64 v[45:46], v[43:44], v[35:36]
	;; [unrolled: 1-line block ×3, first 2 shown]
	buffer_load_dword v0, off, s[28:31], 0 offset:416 ; 4-byte Folded Reload
	v_add_f64 v[51:52], v[224:225], v[51:52]
	v_add_f64 v[27:28], v[220:221], v[27:28]
	v_fma_f64 v[49:50], v[31:32], s[22:23], -v[49:50]
	v_mul_f64 v[37:38], v[37:38], s[4:5]
	v_add_f64 v[6:7], v[25:26], -v[29:30]
	v_add_f64 v[25:26], v[25:26], v[29:30]
	v_add_f64 v[29:30], v[23:24], v[14:15]
	v_add_f64 v[12:13], v[23:24], -v[14:15]
	v_add_f64 v[31:32], v[232:233], v[51:52]
	v_add_f64 v[27:28], v[228:229], v[27:28]
	;; [unrolled: 1-line block ×3, first 2 shown]
	v_add_f64 v[4:5], v[53:54], -v[49:50]
	v_add_f64 v[57:58], v[72:73], v[31:32]
	v_add_f64 v[51:52], v[60:61], v[27:28]
	v_fma_f64 v[60:61], v[33:34], s[20:21], -v[37:38]
	v_add_f64 v[37:38], v[8:9], v[47:48]
	v_add_f64 v[33:34], v[10:11], v[55:56]
	;; [unrolled: 1-line block ×5, first 2 shown]
	v_add_f64 v[14:15], v[51:52], -v[57:58]
	v_add_f64 v[10:11], v[18:19], -v[60:61]
	s_waitcnt vmcnt(0)
	v_lshlrev_b32_e32 v0, 4, v0
	ds_write_b128 v0, v[43:46]
	ds_write_b128 v0, v[35:38] offset:16
	ds_write_b128 v0, v[31:34] offset:32
	;; [unrolled: 1-line block ×9, first 2 shown]
.LBB0_21:
	s_or_b64 exec, exec, s[16:17]
	s_waitcnt lgkmcnt(0)
	s_barrier
	ds_read_b128 v[0:3], v22
	ds_read_b128 v[4:7], v22 offset:1440
	ds_read_b128 v[8:11], v22 offset:2880
	ds_read_b128 v[12:15], v22 offset:4320
	ds_read_b128 v[16:19], v22 offset:5760
	ds_read_b128 v[23:26], v22 offset:7200
	ds_read_b128 v[27:30], v22 offset:8640
	ds_read_b128 v[31:34], v22 offset:10080
	ds_read_b128 v[35:38], v22 offset:11520
	ds_read_b128 v[39:42], v22 offset:12960
	ds_read_b128 v[43:46], v22 offset:14400
	ds_read_b128 v[47:50], v22 offset:15840
	ds_read_b128 v[51:54], v22 offset:17280
	ds_read_b128 v[55:58], v22 offset:18720
	ds_read_b128 v[60:63], v22 offset:20160
	ds_read_b128 v[65:68], v22 offset:21600
	buffer_load_dword v71, off, s[28:31], 0 offset:388 ; 4-byte Folded Reload
	buffer_load_dword v72, off, s[28:31], 0 offset:392 ; 4-byte Folded Reload
	;; [unrolled: 1-line block ×4, first 2 shown]
	s_mov_b32 s4, 0x667f3bcd
	s_mov_b32 s5, 0xbfe6a09e
	;; [unrolled: 1-line block ×12, first 2 shown]
	s_waitcnt vmcnt(0) lgkmcnt(14)
	v_mul_f64 v[69:70], v[73:74], v[6:7]
	v_fma_f64 v[69:70], v[71:72], v[4:5], v[69:70]
	v_mul_f64 v[4:5], v[73:74], v[4:5]
	v_fma_f64 v[4:5], v[71:72], v[6:7], -v[4:5]
	buffer_load_dword v71, off, s[28:31], 0 offset:356 ; 4-byte Folded Reload
	buffer_load_dword v72, off, s[28:31], 0 offset:360 ; 4-byte Folded Reload
	buffer_load_dword v73, off, s[28:31], 0 offset:364 ; 4-byte Folded Reload
	buffer_load_dword v74, off, s[28:31], 0 offset:368 ; 4-byte Folded Reload
	s_waitcnt vmcnt(0) lgkmcnt(13)
	v_mul_f64 v[6:7], v[73:74], v[10:11]
	v_fma_f64 v[6:7], v[71:72], v[8:9], v[6:7]
	v_mul_f64 v[8:9], v[73:74], v[8:9]
	v_fma_f64 v[8:9], v[71:72], v[10:11], -v[8:9]
	buffer_load_dword v71, off, s[28:31], 0 offset:276 ; 4-byte Folded Reload
	buffer_load_dword v72, off, s[28:31], 0 offset:280 ; 4-byte Folded Reload
	buffer_load_dword v73, off, s[28:31], 0 offset:284 ; 4-byte Folded Reload
	buffer_load_dword v74, off, s[28:31], 0 offset:288 ; 4-byte Folded Reload
	;; [unrolled: 9-line block ×4, first 2 shown]
	s_waitcnt lgkmcnt(10)
	v_mul_f64 v[18:19], v[118:119], v[25:26]
	v_fma_f64 v[18:19], v[116:117], v[23:24], v[18:19]
	v_mul_f64 v[23:24], v[118:119], v[23:24]
	v_fma_f64 v[23:24], v[116:117], v[25:26], -v[23:24]
	s_waitcnt lgkmcnt(9)
	v_mul_f64 v[25:26], v[110:111], v[29:30]
	v_fma_f64 v[25:26], v[108:109], v[27:28], v[25:26]
	v_mul_f64 v[27:28], v[110:111], v[27:28]
	v_fma_f64 v[27:28], v[108:109], v[29:30], -v[27:28]
	s_waitcnt vmcnt(0) lgkmcnt(8)
	v_mul_f64 v[29:30], v[73:74], v[33:34]
	v_fma_f64 v[29:30], v[71:72], v[31:32], v[29:30]
	v_mul_f64 v[31:32], v[73:74], v[31:32]
	v_fma_f64 v[31:32], v[71:72], v[33:34], -v[31:32]
	buffer_load_dword v71, off, s[28:31], 0 offset:292 ; 4-byte Folded Reload
	buffer_load_dword v72, off, s[28:31], 0 offset:296 ; 4-byte Folded Reload
	;; [unrolled: 1-line block ×4, first 2 shown]
	s_waitcnt vmcnt(0) lgkmcnt(7)
	v_mul_f64 v[33:34], v[73:74], v[37:38]
	v_fma_f64 v[33:34], v[71:72], v[35:36], v[33:34]
	v_mul_f64 v[35:36], v[73:74], v[35:36]
	v_add_f64 v[33:34], v[0:1], -v[33:34]
	v_fma_f64 v[35:36], v[71:72], v[37:38], -v[35:36]
	buffer_load_dword v71, off, s[28:31], 0 offset:372 ; 4-byte Folded Reload
	buffer_load_dword v72, off, s[28:31], 0 offset:376 ; 4-byte Folded Reload
	;; [unrolled: 1-line block ×4, first 2 shown]
	s_waitcnt lgkmcnt(6)
	v_mul_f64 v[37:38], v[134:135], v[41:42]
	v_fma_f64 v[0:1], v[0:1], 2.0, -v[33:34]
	v_add_f64 v[35:36], v[2:3], -v[35:36]
	v_fma_f64 v[37:38], v[132:133], v[39:40], v[37:38]
	v_mul_f64 v[39:40], v[134:135], v[39:40]
	v_fma_f64 v[2:3], v[2:3], 2.0, -v[35:36]
	v_add_f64 v[37:38], v[69:70], -v[37:38]
	v_fma_f64 v[39:40], v[132:133], v[41:42], -v[39:40]
	s_waitcnt lgkmcnt(5)
	v_mul_f64 v[41:42], v[122:123], v[45:46]
	v_add_f64 v[39:40], v[4:5], -v[39:40]
	v_fma_f64 v[41:42], v[120:121], v[43:44], v[41:42]
	v_mul_f64 v[43:44], v[122:123], v[43:44]
	v_fma_f64 v[4:5], v[4:5], 2.0, -v[39:40]
	v_add_f64 v[41:42], v[6:7], -v[41:42]
	v_fma_f64 v[43:44], v[120:121], v[45:46], -v[43:44]
	v_fma_f64 v[6:7], v[6:7], 2.0, -v[41:42]
	v_add_f64 v[43:44], v[8:9], -v[43:44]
	v_fma_f64 v[8:9], v[8:9], 2.0, -v[43:44]
	s_waitcnt vmcnt(0) lgkmcnt(4)
	v_mul_f64 v[45:46], v[73:74], v[49:50]
	v_fma_f64 v[45:46], v[71:72], v[47:48], v[45:46]
	v_mul_f64 v[47:48], v[73:74], v[47:48]
	v_add_f64 v[45:46], v[10:11], -v[45:46]
	v_fma_f64 v[47:48], v[71:72], v[49:50], -v[47:48]
	buffer_load_dword v71, off, s[28:31], 0 offset:340 ; 4-byte Folded Reload
	buffer_load_dword v72, off, s[28:31], 0 offset:344 ; 4-byte Folded Reload
	;; [unrolled: 1-line block ×4, first 2 shown]
	s_waitcnt vmcnt(0) lgkmcnt(0)
	s_barrier
	v_fma_f64 v[10:11], v[10:11], 2.0, -v[45:46]
	v_add_f64 v[47:48], v[12:13], -v[47:48]
	v_fma_f64 v[12:13], v[12:13], 2.0, -v[47:48]
	v_mul_f64 v[49:50], v[73:74], v[53:54]
	v_fma_f64 v[49:50], v[71:72], v[51:52], v[49:50]
	v_mul_f64 v[51:52], v[73:74], v[51:52]
	v_add_f64 v[49:50], v[14:15], -v[49:50]
	v_fma_f64 v[51:52], v[71:72], v[53:54], -v[51:52]
	v_mul_f64 v[53:54], v[138:139], v[57:58]
	v_fma_f64 v[14:15], v[14:15], 2.0, -v[49:50]
	v_add_f64 v[51:52], v[16:17], -v[51:52]
	v_fma_f64 v[53:54], v[136:137], v[55:56], v[53:54]
	v_mul_f64 v[55:56], v[138:139], v[55:56]
	v_add_f64 v[49:50], v[35:36], -v[49:50]
	v_add_f64 v[14:15], v[0:1], -v[14:15]
	v_fma_f64 v[16:17], v[16:17], 2.0, -v[51:52]
	v_add_f64 v[51:52], v[33:34], v[51:52]
	v_fma_f64 v[55:56], v[136:137], v[57:58], -v[55:56]
	v_mul_f64 v[57:58], v[130:131], v[62:63]
	v_add_f64 v[53:54], v[18:19], -v[53:54]
	v_fma_f64 v[35:36], v[35:36], 2.0, -v[49:50]
	v_fma_f64 v[0:1], v[0:1], 2.0, -v[14:15]
	v_add_f64 v[16:17], v[2:3], -v[16:17]
	v_fma_f64 v[33:34], v[33:34], 2.0, -v[51:52]
	v_add_f64 v[55:56], v[23:24], -v[55:56]
	v_fma_f64 v[57:58], v[128:129], v[60:61], v[57:58]
	v_mul_f64 v[60:61], v[130:131], v[60:61]
	v_fma_f64 v[18:19], v[18:19], 2.0, -v[53:54]
	v_add_f64 v[53:54], v[39:40], -v[53:54]
	v_fma_f64 v[2:3], v[2:3], 2.0, -v[16:17]
	v_fma_f64 v[23:24], v[23:24], 2.0, -v[55:56]
	v_add_f64 v[57:58], v[25:26], -v[57:58]
	v_fma_f64 v[60:61], v[128:129], v[62:63], -v[60:61]
	v_mul_f64 v[62:63], v[106:107], v[67:68]
	v_add_f64 v[55:56], v[37:38], v[55:56]
	v_fma_f64 v[39:40], v[39:40], 2.0, -v[53:54]
	v_add_f64 v[23:24], v[4:5], -v[23:24]
	v_fma_f64 v[25:26], v[25:26], 2.0, -v[57:58]
	v_add_f64 v[60:61], v[27:28], -v[60:61]
	v_fma_f64 v[62:63], v[104:105], v[65:66], v[62:63]
	v_mul_f64 v[65:66], v[106:107], v[65:66]
	v_add_f64 v[57:58], v[43:44], -v[57:58]
	v_fma_f64 v[4:5], v[4:5], 2.0, -v[23:24]
	v_add_f64 v[25:26], v[6:7], -v[25:26]
	v_fma_f64 v[27:28], v[27:28], 2.0, -v[60:61]
	v_add_f64 v[60:61], v[41:42], v[60:61]
	v_fma_f64 v[65:66], v[104:105], v[67:68], -v[65:66]
	v_fma_f64 v[67:68], v[69:70], 2.0, -v[37:38]
	v_add_f64 v[62:63], v[29:30], -v[62:63]
	v_fma_f64 v[43:44], v[43:44], 2.0, -v[57:58]
	v_fma_f64 v[37:38], v[37:38], 2.0, -v[55:56]
	;; [unrolled: 1-line block ×3, first 2 shown]
	v_add_f64 v[27:28], v[8:9], -v[27:28]
	v_fma_f64 v[41:42], v[41:42], 2.0, -v[60:61]
	v_add_f64 v[65:66], v[31:32], -v[65:66]
	v_add_f64 v[18:19], v[67:68], -v[18:19]
	v_fma_f64 v[29:30], v[29:30], 2.0, -v[62:63]
	v_add_f64 v[62:63], v[47:48], -v[62:63]
	v_add_f64 v[79:80], v[16:17], -v[25:26]
	;; [unrolled: 1-line block ×3, first 2 shown]
	v_fma_f64 v[8:9], v[8:9], 2.0, -v[27:28]
	v_add_f64 v[77:78], v[14:15], v[27:28]
	v_fma_f64 v[31:32], v[31:32], 2.0, -v[65:66]
	v_add_f64 v[65:66], v[45:46], v[65:66]
	v_add_f64 v[29:30], v[10:11], -v[29:30]
	v_fma_f64 v[67:68], v[67:68], 2.0, -v[18:19]
	v_fma_f64 v[47:48], v[47:48], 2.0, -v[62:63]
	;; [unrolled: 1-line block ×3, first 2 shown]
	v_add_f64 v[71:72], v[2:3], -v[8:9]
	v_fma_f64 v[0:1], v[41:42], s[4:5], v[33:34]
	v_add_f64 v[31:32], v[12:13], -v[31:32]
	v_fma_f64 v[45:46], v[45:46], 2.0, -v[65:66]
	v_fma_f64 v[10:11], v[10:11], 2.0, -v[29:30]
	;; [unrolled: 1-line block ×3, first 2 shown]
	v_fma_f64 v[14:15], v[62:63], s[12:13], v[53:54]
	v_fma_f64 v[27:28], v[16:17], 2.0, -v[79:80]
	v_fma_f64 v[8:9], v[2:3], 2.0, -v[71:72]
	v_fma_f64 v[2:3], v[43:44], s[4:5], v[35:36]
	v_fma_f64 v[73:74], v[43:44], s[12:13], v[0:1]
	;; [unrolled: 1-line block ×3, first 2 shown]
	v_fma_f64 v[12:13], v[12:13], 2.0, -v[31:32]
	v_fma_f64 v[75:76], v[41:42], s[4:5], v[2:3]
	v_fma_f64 v[2:3], v[57:58], s[12:13], v[49:50]
	;; [unrolled: 1-line block ×3, first 2 shown]
	v_fma_f64 v[33:34], v[33:34], 2.0, -v[73:74]
	v_add_f64 v[57:58], v[18:19], v[31:32]
	v_fma_f64 v[35:36], v[35:36], 2.0, -v[75:76]
	v_fma_f64 v[83:84], v[60:61], s[4:5], v[2:3]
	v_fma_f64 v[41:42], v[51:52], 2.0, -v[81:82]
	v_add_f64 v[51:52], v[4:5], -v[12:13]
	v_add_f64 v[60:61], v[23:24], -v[29:30]
	v_fma_f64 v[18:19], v[18:19], 2.0, -v[57:58]
	v_fma_f64 v[43:44], v[49:50], 2.0, -v[83:84]
	v_add_f64 v[49:50], v[67:68], -v[10:11]
	v_fma_f64 v[2:3], v[4:5], 2.0, -v[51:52]
	v_fma_f64 v[4:5], v[45:46], s[4:5], v[37:38]
	v_fma_f64 v[10:11], v[47:48], s[4:5], v[39:40]
	v_fma_f64 v[16:17], v[23:24], 2.0, -v[60:61]
	v_fma_f64 v[23:24], v[18:19], s[4:5], v[25:26]
	v_fma_f64 v[0:1], v[67:68], 2.0, -v[49:50]
	v_add_f64 v[2:3], v[8:9], -v[2:3]
	v_fma_f64 v[47:48], v[47:48], s[12:13], v[4:5]
	v_fma_f64 v[45:46], v[45:46], s[4:5], v[10:11]
	;; [unrolled: 1-line block ×4, first 2 shown]
	v_add_f64 v[0:1], v[6:7], -v[0:1]
	v_fma_f64 v[10:11], v[37:38], 2.0, -v[47:48]
	v_fma_f64 v[12:13], v[39:40], 2.0, -v[45:46]
	v_fma_f64 v[62:63], v[62:63], s[12:13], v[4:5]
	v_fma_f64 v[31:32], v[53:54], 2.0, -v[65:66]
	v_add_f64 v[37:38], v[71:72], -v[49:50]
	v_fma_f64 v[49:50], v[45:46], s[16:17], v[75:76]
	v_fma_f64 v[4:5], v[6:7], 2.0, -v[0:1]
	v_fma_f64 v[6:7], v[8:9], 2.0, -v[2:3]
	v_fma_f64 v[8:9], v[10:11], s[18:19], v[33:34]
	v_fma_f64 v[14:15], v[12:13], s[18:19], v[35:36]
	v_fma_f64 v[29:30], v[55:56], 2.0, -v[62:63]
	v_fma_f64 v[53:54], v[60:61], s[12:13], v[79:80]
	v_fma_f64 v[67:68], v[65:66], s[20:21], v[83:84]
	;; [unrolled: 1-line block ×5, first 2 shown]
	v_fma_f64 v[12:13], v[33:34], 2.0, -v[8:9]
	v_fma_f64 v[33:34], v[16:17], s[4:5], v[27:28]
	v_fma_f64 v[16:17], v[16:17], s[12:13], v[23:24]
	v_fma_f64 v[14:15], v[35:36], 2.0, -v[10:11]
	v_add_f64 v[35:36], v[69:70], v[51:52]
	v_fma_f64 v[51:52], v[57:58], s[12:13], v[77:78]
	v_fma_f64 v[57:58], v[79:80], 2.0, -v[53:54]
	v_fma_f64 v[18:19], v[18:19], s[4:5], v[33:34]
	v_fma_f64 v[33:34], v[31:32], s[14:15], v[43:44]
	v_fma_f64 v[23:24], v[25:26], 2.0, -v[16:17]
	v_fma_f64 v[39:40], v[69:70], 2.0, -v[35:36]
	v_fma_f64 v[51:52], v[60:61], s[12:13], v[51:52]
	v_fma_f64 v[60:61], v[62:63], s[20:21], v[81:82]
	;; [unrolled: 1-line block ×3, first 2 shown]
	v_fma_f64 v[25:26], v[27:28], 2.0, -v[18:19]
	v_fma_f64 v[27:28], v[29:30], s[14:15], v[41:42]
	v_fma_f64 v[29:30], v[29:30], s[18:19], v[33:34]
	v_fma_f64 v[55:56], v[77:78], 2.0, -v[51:52]
	v_fma_f64 v[60:61], v[65:66], s[16:17], v[60:61]
	v_fma_f64 v[67:68], v[83:84], 2.0, -v[62:63]
	;; [unrolled: 2-line block ×4, first 2 shown]
	v_fma_f64 v[31:32], v[41:42], 2.0, -v[27:28]
	v_fma_f64 v[41:42], v[71:72], 2.0, -v[37:38]
	v_fma_f64 v[43:44], v[45:46], s[20:21], v[43:44]
	v_fma_f64 v[45:46], v[47:48], s[18:19], v[49:50]
	v_fma_f64 v[47:48], v[73:74], 2.0, -v[43:44]
	v_fma_f64 v[49:50], v[75:76], 2.0, -v[45:46]
	ds_write_b128 v64, v[4:7]
	ds_write_b128 v64, v[12:15] offset:160
	ds_write_b128 v64, v[23:26] offset:320
	;; [unrolled: 1-line block ×15, first 2 shown]
	s_waitcnt lgkmcnt(0)
	s_barrier
	ds_read_b128 v[16:19], v22
	ds_read_b128 v[104:107], v22 offset:7680
	ds_read_b128 v[96:99], v22 offset:15360
	;; [unrolled: 1-line block ×14, first 2 shown]
	s_and_saveexec_b64 s[4:5], s[2:3]
	s_cbranch_execz .LBB0_23
; %bb.22:
	ds_read_b128 v[60:63], v22 offset:7200
	ds_read_b128 v[236:239], v22 offset:14880
	;; [unrolled: 1-line block ×3, first 2 shown]
.LBB0_23:
	s_or_b64 exec, exec, s[4:5]
	buffer_load_dword v37, off, s[28:31], 0 offset:196 ; 4-byte Folded Reload
	buffer_load_dword v38, off, s[28:31], 0 offset:200 ; 4-byte Folded Reload
	;; [unrolled: 1-line block ×8, first 2 shown]
	s_waitcnt lgkmcnt(1)
	v_mul_f64 v[55:56], v[146:147], v[74:75]
	v_mul_f64 v[53:54], v[114:115], v[68:69]
	s_mov_b32 s4, 0xe8584caa
	s_mov_b32 s5, 0xbfebb67a
	;; [unrolled: 1-line block ×4, first 2 shown]
	s_waitcnt vmcnt(4)
	v_mul_f64 v[23:24], v[39:40], v[106:107]
	s_waitcnt vmcnt(0)
	v_mul_f64 v[27:28], v[43:44], v[98:99]
	v_mul_f64 v[29:30], v[43:44], v[96:97]
	buffer_load_dword v43, off, s[28:31], 0 offset:244 ; 4-byte Folded Reload
	buffer_load_dword v44, off, s[28:31], 0 offset:248 ; 4-byte Folded Reload
	;; [unrolled: 1-line block ×8, first 2 shown]
	v_mul_f64 v[25:26], v[39:40], v[104:105]
	v_fma_f64 v[35:36], v[37:38], v[104:105], v[23:24]
	v_fma_f64 v[27:28], v[41:42], v[96:97], v[27:28]
	v_fma_f64 v[29:30], v[41:42], v[98:99], -v[29:30]
	v_fma_f64 v[25:26], v[37:38], v[106:107], -v[25:26]
	s_waitcnt vmcnt(4)
	v_mul_f64 v[31:32], v[45:46], v[102:103]
	s_waitcnt vmcnt(0)
	v_mul_f64 v[23:24], v[49:50], v[90:91]
	v_mul_f64 v[37:38], v[49:50], v[88:89]
	buffer_load_dword v49, off, s[28:31], 0 offset:308 ; 4-byte Folded Reload
	buffer_load_dword v50, off, s[28:31], 0 offset:312 ; 4-byte Folded Reload
	;; [unrolled: 1-line block ×8, first 2 shown]
	v_mul_f64 v[33:34], v[45:46], v[100:101]
	s_waitcnt vmcnt(0) lgkmcnt(0)
	s_barrier
	v_fma_f64 v[31:32], v[43:44], v[100:101], v[31:32]
	v_fma_f64 v[45:46], v[47:48], v[88:89], v[23:24]
	v_fma_f64 v[37:38], v[47:48], v[90:91], -v[37:38]
	v_mul_f64 v[47:48], v[126:127], v[86:87]
	v_fma_f64 v[33:34], v[43:44], v[102:103], -v[33:34]
	v_fma_f64 v[47:48], v[124:125], v[84:85], v[47:48]
	v_mul_f64 v[39:40], v[51:52], v[94:95]
	v_mul_f64 v[23:24], v[82:83], v[76:77]
	;; [unrolled: 1-line block ×5, first 2 shown]
	v_fma_f64 v[70:71], v[112:113], v[70:71], -v[53:54]
	v_add_f64 v[53:54], v[35:36], v[27:28]
	v_fma_f64 v[39:40], v[49:50], v[92:93], v[39:40]
	v_fma_f64 v[57:58], v[80:81], v[78:79], -v[23:24]
	v_fma_f64 v[78:79], v[144:145], v[72:73], v[55:56]
	v_mul_f64 v[55:56], v[154:155], v[236:237]
	v_fma_f64 v[41:42], v[49:50], v[94:95], -v[41:42]
	v_mul_f64 v[49:50], v[126:127], v[84:85]
	v_fma_f64 v[68:69], v[112:113], v[68:69], v[51:52]
	v_mul_f64 v[51:52], v[142:143], v[64:65]
	v_mul_f64 v[23:24], v[146:147], v[72:73]
	v_fma_f64 v[43:44], v[80:81], v[76:77], v[43:44]
	v_mul_f64 v[76:77], v[142:143], v[66:67]
	v_fma_f64 v[90:91], v[152:153], v[238:239], -v[55:56]
	v_add_f64 v[55:56], v[25:26], v[29:30]
	v_fma_f64 v[49:50], v[124:125], v[86:87], -v[49:50]
	v_fma_f64 v[53:54], v[53:54], -0.5, v[16:17]
	v_fma_f64 v[86:87], v[140:141], v[66:67], -v[51:52]
	v_add_f64 v[51:52], v[16:17], v[35:36]
	v_add_f64 v[66:67], v[25:26], -v[29:30]
	v_add_f64 v[25:26], v[18:19], v[25:26]
	v_fma_f64 v[82:83], v[144:145], v[74:75], -v[23:24]
	v_mul_f64 v[23:24], v[154:155], v[238:239]
	v_fma_f64 v[55:56], v[55:56], -0.5, v[18:19]
	v_add_f64 v[35:36], v[35:36], -v[27:28]
	v_fma_f64 v[84:85], v[140:141], v[64:65], v[76:77]
	v_add_f64 v[16:17], v[51:52], v[27:28]
	v_fma_f64 v[27:28], v[66:67], s[12:13], v[53:54]
	v_add_f64 v[18:19], v[25:26], v[29:30]
	v_mul_f64 v[64:65], v[150:151], v[242:243]
	v_fma_f64 v[88:89], v[152:153], v[236:237], v[23:24]
	v_fma_f64 v[23:24], v[66:67], s[4:5], v[53:54]
	;; [unrolled: 1-line block ×4, first 2 shown]
	ds_write_b128 v22, v[16:19]
	ds_write_b128 v22, v[23:26] offset:2560
	ds_write_b128 v22, v[27:30] offset:5120
	buffer_load_dword v16, off, s[28:31], 0 offset:408 ; 4-byte Folded Reload
	v_add_f64 v[51:52], v[31:32], v[45:46]
	v_fma_f64 v[92:93], v[148:149], v[240:241], v[64:65]
	v_add_f64 v[53:54], v[12:13], v[31:32]
	v_add_f64 v[64:65], v[33:34], v[37:38]
	v_mul_f64 v[72:73], v[150:151], v[240:241]
	v_add_f64 v[66:67], v[33:34], -v[37:38]
	v_add_f64 v[33:34], v[14:15], v[33:34]
	v_add_f64 v[80:81], v[82:83], -v[86:87]
	v_fma_f64 v[51:52], v[51:52], -0.5, v[12:13]
	v_add_f64 v[12:13], v[53:54], v[45:46]
	v_add_f64 v[53:54], v[39:40], v[43:44]
	v_fma_f64 v[55:56], v[64:65], -0.5, v[14:15]
	v_add_f64 v[64:65], v[41:42], v[57:58]
	v_add_f64 v[45:46], v[31:32], -v[45:46]
	v_fma_f64 v[94:95], v[148:149], v[242:243], -v[72:73]
	v_fma_f64 v[31:32], v[66:67], s[4:5], v[51:52]
	v_fma_f64 v[35:36], v[66:67], s[12:13], v[51:52]
	v_add_f64 v[51:52], v[8:9], v[39:40]
	v_add_f64 v[72:73], v[41:42], -v[57:58]
	v_add_f64 v[41:42], v[10:11], v[41:42]
	v_fma_f64 v[66:67], v[53:54], -0.5, v[8:9]
	v_fma_f64 v[74:75], v[64:65], -0.5, v[10:11]
	v_add_f64 v[39:40], v[39:40], -v[43:44]
	v_add_f64 v[14:15], v[33:34], v[37:38]
	v_fma_f64 v[33:34], v[45:46], s[12:13], v[55:56]
	v_fma_f64 v[37:38], v[45:46], s[4:5], v[55:56]
	v_add_f64 v[8:9], v[51:52], v[43:44]
	v_add_f64 v[10:11], v[41:42], v[57:58]
	v_fma_f64 v[52:53], v[72:73], s[4:5], v[66:67]
	v_fma_f64 v[64:65], v[72:73], s[12:13], v[66:67]
	;; [unrolled: 1-line block ×4, first 2 shown]
	v_add_f64 v[45:46], v[47:48], v[68:69]
	v_add_f64 v[41:42], v[49:50], v[70:71]
	;; [unrolled: 1-line block ×5, first 2 shown]
	v_add_f64 v[47:48], v[47:48], -v[68:69]
	v_add_f64 v[56:57], v[49:50], -v[70:71]
	s_waitcnt vmcnt(0)
	ds_write_b128 v16, v[12:15]
	ds_write_b128 v16, v[31:34] offset:2560
	ds_write_b128 v16, v[35:38] offset:5120
	;; [unrolled: 1-line block ×5, first 2 shown]
	buffer_load_dword v8, off, s[28:31], 0 offset:412 ; 4-byte Folded Reload
	v_fma_f64 v[45:46], v[45:46], -0.5, v[4:5]
	v_fma_f64 v[41:42], v[41:42], -0.5, v[6:7]
	v_add_f64 v[4:5], v[43:44], v[68:69]
	v_add_f64 v[43:44], v[0:1], v[78:79]
	v_fma_f64 v[49:50], v[72:73], -0.5, v[0:1]
	v_add_f64 v[6:7], v[39:40], v[70:71]
	v_add_f64 v[39:40], v[82:83], v[86:87]
	v_fma_f64 v[68:69], v[56:57], s[4:5], v[45:46]
	v_fma_f64 v[70:71], v[47:48], s[12:13], v[41:42]
	;; [unrolled: 1-line block ×3, first 2 shown]
	v_add_f64 v[0:1], v[43:44], v[84:85]
	v_add_f64 v[41:42], v[88:89], v[92:93]
	v_add_f64 v[43:44], v[90:91], v[94:95]
	v_fma_f64 v[72:73], v[56:57], s[12:13], v[45:46]
	v_fma_f64 v[76:77], v[80:81], s[4:5], v[49:50]
	;; [unrolled: 1-line block ×3, first 2 shown]
	v_add_f64 v[45:46], v[2:3], v[82:83]
	v_fma_f64 v[39:40], v[39:40], -0.5, v[2:3]
	v_add_f64 v[47:48], v[78:79], -v[84:85]
	v_add_f64 v[49:50], v[60:61], v[88:89]
	v_fma_f64 v[56:57], v[41:42], -0.5, v[60:61]
	v_add_f64 v[60:61], v[90:91], -v[94:95]
	;; [unrolled: 3-line block ×3, first 2 shown]
	v_add_f64 v[2:3], v[45:46], v[86:87]
	v_fma_f64 v[78:79], v[47:48], s[12:13], v[39:40]
	v_fma_f64 v[82:83], v[47:48], s[4:5], v[39:40]
	v_add_f64 v[40:41], v[49:50], v[92:93]
	v_fma_f64 v[44:45], v[60:61], s[4:5], v[56:57]
	v_fma_f64 v[48:49], v[60:61], s[12:13], v[56:57]
	;; [unrolled: 3-line block ×3, first 2 shown]
	s_waitcnt vmcnt(0)
	ds_write_b128 v8, v[4:7]
	ds_write_b128 v8, v[68:71] offset:2560
	ds_write_b128 v8, v[72:75] offset:5120
	;; [unrolled: 1-line block ×5, first 2 shown]
	s_and_saveexec_b64 s[4:5], s[2:3]
	s_cbranch_execz .LBB0_25
; %bb.24:
	buffer_load_dword v0, off, s[28:31], 0 offset:404 ; 4-byte Folded Reload
	s_waitcnt vmcnt(0)
	ds_write_b128 v0, v[40:43] offset:15360
	ds_write_b128 v0, v[44:47] offset:17920
	;; [unrolled: 1-line block ×3, first 2 shown]
.LBB0_25:
	s_or_b64 exec, exec, s[4:5]
	s_waitcnt lgkmcnt(0)
	s_barrier
	ds_read_b128 v[16:19], v22
	ds_read_b128 v[12:15], v22 offset:1440
	ds_read_b128 v[84:87], v22 offset:15360
	;; [unrolled: 1-line block ×14, first 2 shown]
	s_and_saveexec_b64 s[4:5], s[2:3]
	s_cbranch_execz .LBB0_27
; %bb.26:
	ds_read_b128 v[40:43], v22 offset:7200
	ds_read_b128 v[44:47], v22 offset:14880
	;; [unrolled: 1-line block ×3, first 2 shown]
.LBB0_27:
	s_or_b64 exec, exec, s[4:5]
	s_waitcnt lgkmcnt(4)
	v_mul_f64 v[23:24], v[166:167], v[90:91]
	v_mul_f64 v[27:28], v[170:171], v[86:87]
	v_mul_f64 v[31:32], v[178:179], v[82:83]
	v_mul_f64 v[25:26], v[166:167], v[88:89]
	v_mul_f64 v[29:30], v[170:171], v[84:85]
	v_mul_f64 v[33:34], v[178:179], v[80:81]
	v_mul_f64 v[35:36], v[174:175], v[74:75]
	s_mov_b32 s4, 0xe8584caa
	v_fma_f64 v[37:38], v[164:165], v[88:89], v[23:24]
	v_fma_f64 v[27:28], v[168:169], v[84:85], v[27:28]
	;; [unrolled: 1-line block ×3, first 2 shown]
	v_mul_f64 v[23:24], v[174:175], v[72:73]
	v_mul_f64 v[80:81], v[182:183], v[66:67]
	;; [unrolled: 1-line block ×3, first 2 shown]
	v_fma_f64 v[25:26], v[164:165], v[90:91], -v[25:26]
	v_fma_f64 v[29:30], v[168:169], v[86:87], -v[29:30]
	v_fma_f64 v[33:34], v[176:177], v[82:83], -v[33:34]
	v_mul_f64 v[82:83], v[182:183], v[64:65]
	v_fma_f64 v[35:36], v[172:173], v[72:73], v[35:36]
	v_mul_f64 v[72:73], v[186:187], v[70:71]
	s_waitcnt lgkmcnt(2)
	v_mul_f64 v[86:87], v[194:195], v[78:79]
	v_fma_f64 v[74:75], v[172:173], v[74:75], -v[23:24]
	v_mul_f64 v[23:24], v[194:195], v[76:77]
	v_fma_f64 v[64:65], v[180:181], v[64:65], v[80:81]
	v_mul_f64 v[80:81], v[190:191], v[62:63]
	v_fma_f64 v[70:71], v[184:185], v[70:71], -v[84:85]
	s_waitcnt lgkmcnt(0)
	v_mul_f64 v[84:85], v[202:203], v[54:55]
	v_fma_f64 v[66:67], v[180:181], v[66:67], -v[82:83]
	v_fma_f64 v[68:69], v[184:185], v[68:69], v[72:73]
	v_fma_f64 v[72:73], v[192:193], v[76:77], v[86:87]
	v_mul_f64 v[76:77], v[190:191], v[60:61]
	v_fma_f64 v[78:79], v[192:193], v[78:79], -v[23:24]
	v_mul_f64 v[23:24], v[198:199], v[58:59]
	v_add_f64 v[82:83], v[37:38], v[27:28]
	v_fma_f64 v[80:81], v[188:189], v[60:61], v[80:81]
	v_mul_f64 v[60:61], v[198:199], v[56:57]
	v_mul_f64 v[86:87], v[202:203], v[52:53]
	v_fma_f64 v[84:85], v[200:201], v[52:53], v[84:85]
	v_add_f64 v[52:53], v[25:26], v[29:30]
	v_fma_f64 v[62:63], v[188:189], v[62:63], -v[76:77]
	v_add_f64 v[76:77], v[16:17], v[37:38]
	v_fma_f64 v[88:89], v[196:197], v[56:57], v[23:24]
	v_fma_f64 v[56:57], v[82:83], -0.5, v[16:17]
	v_add_f64 v[82:83], v[25:26], -v[29:30]
	v_fma_f64 v[90:91], v[196:197], v[58:59], -v[60:61]
	v_fma_f64 v[86:87], v[200:201], v[54:55], -v[86:87]
	v_add_f64 v[25:26], v[18:19], v[25:26]
	v_add_f64 v[54:55], v[31:32], v[35:36]
	v_fma_f64 v[52:53], v[52:53], -0.5, v[18:19]
	v_add_f64 v[37:38], v[37:38], -v[27:28]
	v_add_f64 v[58:59], v[33:34], v[74:75]
	s_mov_b32 s5, 0xbfebb67a
	s_mov_b32 s12, s4
	v_add_f64 v[16:17], v[76:77], v[27:28]
	v_fma_f64 v[23:24], v[82:83], s[4:5], v[56:57]
	v_fma_f64 v[27:28], v[82:83], s[12:13], v[56:57]
	v_add_f64 v[56:57], v[12:13], v[31:32]
	v_add_f64 v[18:19], v[25:26], v[29:30]
	v_fma_f64 v[54:55], v[54:55], -0.5, v[12:13]
	v_add_f64 v[60:61], v[33:34], -v[74:75]
	v_fma_f64 v[25:26], v[37:38], s[12:13], v[52:53]
	v_add_f64 v[33:34], v[14:15], v[33:34]
	v_fma_f64 v[29:30], v[37:38], s[4:5], v[52:53]
	v_add_f64 v[37:38], v[64:65], v[68:69]
	v_fma_f64 v[52:53], v[58:59], -0.5, v[14:15]
	v_add_f64 v[58:59], v[8:9], v[64:65]
	v_add_f64 v[12:13], v[56:57], v[35:36]
	v_add_f64 v[56:57], v[31:32], -v[35:36]
	v_fma_f64 v[31:32], v[60:61], s[4:5], v[54:55]
	v_fma_f64 v[35:36], v[60:61], s[12:13], v[54:55]
	v_add_f64 v[14:15], v[33:34], v[74:75]
	v_add_f64 v[54:55], v[66:67], v[70:71]
	v_fma_f64 v[60:61], v[37:38], -0.5, v[8:9]
	v_add_f64 v[74:75], v[66:67], -v[70:71]
	v_add_f64 v[76:77], v[72:73], v[80:81]
	v_add_f64 v[66:67], v[10:11], v[66:67]
	v_add_f64 v[64:65], v[64:65], -v[68:69]
	v_add_f64 v[8:9], v[58:59], v[68:69]
	v_add_f64 v[68:69], v[4:5], v[72:73]
	v_fma_f64 v[82:83], v[54:55], -0.5, v[10:11]
	v_add_f64 v[92:93], v[78:79], -v[62:63]
	v_fma_f64 v[33:34], v[56:57], s[12:13], v[52:53]
	v_fma_f64 v[76:77], v[76:77], -0.5, v[4:5]
	v_add_f64 v[10:11], v[66:67], v[70:71]
	v_add_f64 v[66:67], v[78:79], v[62:63]
	;; [unrolled: 1-line block ×5, first 2 shown]
	v_fma_f64 v[37:38], v[56:57], s[4:5], v[52:53]
	v_fma_f64 v[52:53], v[74:75], s[4:5], v[60:61]
	;; [unrolled: 1-line block ×7, first 2 shown]
	v_add_f64 v[74:75], v[6:7], v[78:79]
	v_fma_f64 v[66:67], v[66:67], -0.5, v[6:7]
	v_add_f64 v[72:73], v[72:73], -v[80:81]
	v_add_f64 v[76:77], v[0:1], v[88:89]
	v_fma_f64 v[78:79], v[68:69], -0.5, v[0:1]
	v_add_f64 v[80:81], v[90:91], -v[86:87]
	;; [unrolled: 3-line block ×3, first 2 shown]
	v_add_f64 v[6:7], v[74:75], v[62:63]
	v_fma_f64 v[62:63], v[72:73], s[12:13], v[66:67]
	v_fma_f64 v[66:67], v[72:73], s[4:5], v[66:67]
	v_add_f64 v[0:1], v[76:77], v[84:85]
	v_fma_f64 v[68:69], v[80:81], s[4:5], v[78:79]
	v_fma_f64 v[72:73], v[80:81], s[12:13], v[78:79]
	;; [unrolled: 3-line block ×3, first 2 shown]
	ds_write_b128 v22, v[16:19]
	ds_write_b128 v22, v[23:26] offset:7680
	ds_write_b128 v22, v[27:30] offset:15360
	;; [unrolled: 1-line block ×14, first 2 shown]
	s_and_saveexec_b64 s[14:15], s[2:3]
	s_cbranch_execz .LBB0_29
; %bb.28:
	buffer_load_dword v8, off, s[28:31], 0 offset:420 ; 4-byte Folded Reload
	buffer_load_dword v9, off, s[28:31], 0 offset:424 ; 4-byte Folded Reload
	;; [unrolled: 1-line block ×8, first 2 shown]
	s_waitcnt vmcnt(4)
	v_mul_f64 v[0:1], v[10:11], v[44:45]
	s_waitcnt vmcnt(0)
	v_mul_f64 v[2:3], v[14:15], v[48:49]
	v_mul_f64 v[4:5], v[10:11], v[46:47]
	;; [unrolled: 1-line block ×3, first 2 shown]
	v_fma_f64 v[0:1], v[8:9], v[46:47], -v[0:1]
	v_fma_f64 v[2:3], v[12:13], v[50:51], -v[2:3]
	v_fma_f64 v[4:5], v[8:9], v[44:45], v[4:5]
	v_fma_f64 v[6:7], v[12:13], v[48:49], v[6:7]
	v_add_f64 v[14:15], v[42:43], v[0:1]
	v_add_f64 v[8:9], v[0:1], v[2:3]
	v_add_f64 v[16:17], v[0:1], -v[2:3]
	v_add_f64 v[10:11], v[4:5], v[6:7]
	v_add_f64 v[12:13], v[4:5], -v[6:7]
	v_add_f64 v[4:5], v[40:41], v[4:5]
	v_add_f64 v[2:3], v[14:15], v[2:3]
	v_fma_f64 v[8:9], v[8:9], -0.5, v[42:43]
	v_fma_f64 v[18:19], v[10:11], -0.5, v[40:41]
	v_add_f64 v[0:1], v[4:5], v[6:7]
	v_fma_f64 v[6:7], v[12:13], s[4:5], v[8:9]
	v_fma_f64 v[10:11], v[12:13], s[12:13], v[8:9]
	;; [unrolled: 1-line block ×4, first 2 shown]
	ds_write_b128 v22, v[0:3] offset:7200
	ds_write_b128 v22, v[8:11] offset:14880
	;; [unrolled: 1-line block ×3, first 2 shown]
.LBB0_29:
	s_or_b64 exec, exec, s[14:15]
	s_waitcnt lgkmcnt(0)
	s_barrier
	ds_read_b128 v[0:3], v22
	buffer_load_dword v4, off, s[28:31], 0 offset:8 ; 4-byte Folded Reload
	buffer_load_dword v5, off, s[28:31], 0 offset:12 ; 4-byte Folded Reload
	s_mul_i32 s4, s9, 0x90
	s_mul_hi_u32 s5, s8, 0x90
	s_add_i32 s5, s5, s4
	s_mul_i32 s4, s8, 0x90
	s_lshl_b64 s[4:5], s[4:5], 4
	v_mov_b32_e32 v29, s5
	s_waitcnt vmcnt(1)
	v_mov_b32_e32 v14, v4
	s_waitcnt vmcnt(0)
	ds_read_b128 v[4:7], v22 offset:2304
	buffer_load_dword v23, off, s[28:31], 0 offset:132 ; 4-byte Folded Reload
	buffer_load_dword v24, off, s[28:31], 0 offset:136 ; 4-byte Folded Reload
	;; [unrolled: 1-line block ×4, first 2 shown]
	v_mad_u64_u32 v[8:9], s[2:3], s10, v14, 0
	s_waitcnt vmcnt(0) lgkmcnt(1)
	v_mul_f64 v[10:11], v[25:26], v[2:3]
	v_mul_f64 v[12:13], v[25:26], v[0:1]
	v_mad_u64_u32 v[14:15], s[2:3], s11, v14, v[9:10]
	buffer_load_dword v15, off, s[28:31], 0 ; 4-byte Folded Reload
	buffer_load_dword v16, off, s[28:31], 0 offset:4 ; 4-byte Folded Reload
	v_fma_f64 v[0:1], v[23:24], v[0:1], v[10:11]
	v_fma_f64 v[2:3], v[23:24], v[2:3], -v[12:13]
	buffer_load_dword v23, off, s[28:31], 0 offset:68 ; 4-byte Folded Reload
	buffer_load_dword v24, off, s[28:31], 0 offset:72 ; 4-byte Folded Reload
	buffer_load_dword v25, off, s[28:31], 0 offset:76 ; 4-byte Folded Reload
	buffer_load_dword v26, off, s[28:31], 0 offset:80 ; 4-byte Folded Reload
	v_mov_b32_e32 v9, v14
	v_lshlrev_b64 v[8:9], 4, v[8:9]
	v_mov_b32_e32 v14, s7
	v_add_co_u32_e32 v27, vcc, s6, v8
	v_addc_co_u32_e32 v28, vcc, v14, v9, vcc
	s_waitcnt vmcnt(5)
	v_mov_b32_e32 v17, v15
	s_waitcnt vmcnt(4)
	v_mad_u64_u32 v[15:16], s[2:3], s8, v17, 0
	s_waitcnt vmcnt(0) lgkmcnt(0)
	v_mul_f64 v[12:13], v[25:26], v[4:5]
	v_mov_b32_e32 v10, v16
	v_mad_u64_u32 v[10:11], s[2:3], s9, v17, v[10:11]
	s_mov_b32 s2, 0x16c16c17
	s_mov_b32 s3, 0x3f46c16c
	v_mov_b32_e32 v16, v10
	v_mul_f64 v[10:11], v[25:26], v[6:7]
	v_mul_f64 v[0:1], v[0:1], s[2:3]
	;; [unrolled: 1-line block ×3, first 2 shown]
	v_lshlrev_b64 v[8:9], 4, v[15:16]
	v_fma_f64 v[12:13], v[23:24], v[6:7], -v[12:13]
	v_add_co_u32_e32 v14, vcc, v27, v8
	v_addc_co_u32_e32 v15, vcc, v28, v9, vcc
	v_fma_f64 v[10:11], v[23:24], v[4:5], v[10:11]
	global_store_dwordx4 v[14:15], v[0:3], off
	ds_read_b128 v[4:7], v22 offset:4608
	v_mul_f64 v[2:3], v[12:13], s[2:3]
	v_add_co_u32_e32 v14, vcc, s4, v14
	v_addc_co_u32_e32 v15, vcc, v15, v29, vcc
	v_mul_f64 v[0:1], v[10:11], s[2:3]
	ds_read_b128 v[8:11], v22 offset:6912
	buffer_load_dword v23, off, s[28:31], 0 offset:84 ; 4-byte Folded Reload
	buffer_load_dword v24, off, s[28:31], 0 offset:88 ; 4-byte Folded Reload
	;; [unrolled: 1-line block ×4, first 2 shown]
	s_waitcnt vmcnt(0) lgkmcnt(1)
	v_mul_f64 v[12:13], v[25:26], v[6:7]
	v_mul_f64 v[16:17], v[25:26], v[4:5]
	v_fma_f64 v[4:5], v[23:24], v[4:5], v[12:13]
	v_fma_f64 v[12:13], v[23:24], v[6:7], -v[16:17]
	buffer_load_dword v23, off, s[28:31], 0 offset:20 ; 4-byte Folded Reload
	buffer_load_dword v24, off, s[28:31], 0 offset:24 ; 4-byte Folded Reload
	;; [unrolled: 1-line block ×4, first 2 shown]
	s_waitcnt vmcnt(0) lgkmcnt(0)
	v_mul_f64 v[16:17], v[25:26], v[10:11]
	v_mul_f64 v[18:19], v[25:26], v[8:9]
	global_store_dwordx4 v[14:15], v[0:3], off
	v_add_co_u32_e32 v14, vcc, s4, v14
	v_mul_f64 v[0:1], v[4:5], s[2:3]
	ds_read_b128 v[4:7], v22 offset:9216
	v_mul_f64 v[2:3], v[12:13], s[2:3]
	v_fma_f64 v[12:13], v[23:24], v[8:9], v[16:17]
	v_fma_f64 v[16:17], v[23:24], v[10:11], -v[18:19]
	ds_read_b128 v[8:11], v22 offset:11520
	buffer_load_dword v30, off, s[28:31], 0 offset:116 ; 4-byte Folded Reload
	buffer_load_dword v31, off, s[28:31], 0 offset:120 ; 4-byte Folded Reload
	;; [unrolled: 1-line block ×4, first 2 shown]
	v_addc_co_u32_e32 v15, vcc, v15, v29, vcc
	global_store_dwordx4 v[14:15], v[0:3], off
	s_nop 0
	v_mul_f64 v[0:1], v[12:13], s[2:3]
	v_mul_f64 v[2:3], v[16:17], s[2:3]
	v_add_co_u32_e32 v14, vcc, s4, v14
	v_addc_co_u32_e32 v15, vcc, v15, v29, vcc
	s_waitcnt vmcnt(1) lgkmcnt(1)
	v_mul_f64 v[23:24], v[32:33], v[4:5]
	v_mul_f64 v[18:19], v[32:33], v[6:7]
	v_fma_f64 v[12:13], v[30:31], v[6:7], -v[23:24]
	buffer_load_dword v23, off, s[28:31], 0 offset:36 ; 4-byte Folded Reload
	buffer_load_dword v24, off, s[28:31], 0 offset:40 ; 4-byte Folded Reload
	;; [unrolled: 1-line block ×4, first 2 shown]
	v_fma_f64 v[4:5], v[30:31], v[4:5], v[18:19]
	global_store_dwordx4 v[14:15], v[0:3], off
	v_add_co_u32_e32 v14, vcc, s4, v14
	v_addc_co_u32_e32 v15, vcc, v15, v29, vcc
	v_mul_f64 v[2:3], v[12:13], s[2:3]
	v_mul_f64 v[0:1], v[4:5], s[2:3]
	ds_read_b128 v[4:7], v22 offset:13824
	s_waitcnt vmcnt(1) lgkmcnt(1)
	v_mul_f64 v[16:17], v[25:26], v[10:11]
	v_mul_f64 v[18:19], v[25:26], v[8:9]
	v_fma_f64 v[12:13], v[23:24], v[8:9], v[16:17]
	v_fma_f64 v[16:17], v[23:24], v[10:11], -v[18:19]
	ds_read_b128 v[8:11], v22 offset:16128
	buffer_load_dword v30, off, s[28:31], 0 offset:164 ; 4-byte Folded Reload
	buffer_load_dword v31, off, s[28:31], 0 offset:168 ; 4-byte Folded Reload
	;; [unrolled: 1-line block ×4, first 2 shown]
	s_waitcnt vmcnt(0) lgkmcnt(1)
	v_mul_f64 v[23:24], v[32:33], v[4:5]
	global_store_dwordx4 v[14:15], v[0:3], off
	v_mul_f64 v[18:19], v[32:33], v[6:7]
	v_mul_f64 v[0:1], v[12:13], s[2:3]
	;; [unrolled: 1-line block ×3, first 2 shown]
	v_add_co_u32_e32 v14, vcc, s4, v14
	v_addc_co_u32_e32 v15, vcc, v15, v29, vcc
	v_fma_f64 v[6:7], v[30:31], v[6:7], -v[23:24]
	buffer_load_dword v23, off, s[28:31], 0 offset:148 ; 4-byte Folded Reload
	buffer_load_dword v24, off, s[28:31], 0 offset:152 ; 4-byte Folded Reload
	;; [unrolled: 1-line block ×4, first 2 shown]
	v_fma_f64 v[4:5], v[30:31], v[4:5], v[18:19]
	global_store_dwordx4 v[14:15], v[0:3], off
	s_waitcnt vmcnt(1) lgkmcnt(0)
	v_mul_f64 v[12:13], v[25:26], v[10:11]
	v_mul_f64 v[16:17], v[25:26], v[8:9]
	;; [unrolled: 1-line block ×4, first 2 shown]
	ds_read_b128 v[4:7], v22 offset:18432
	v_fma_f64 v[8:9], v[23:24], v[8:9], v[12:13]
	v_fma_f64 v[10:11], v[23:24], v[10:11], -v[16:17]
	v_add_co_u32_e32 v12, vcc, s4, v14
	v_addc_co_u32_e32 v13, vcc, v15, v29, vcc
	global_store_dwordx4 v[12:13], v[0:3], off
	v_add_co_u32_e32 v12, vcc, s4, v12
	v_mul_f64 v[0:1], v[8:9], s[2:3]
	v_mul_f64 v[2:3], v[10:11], s[2:3]
	ds_read_b128 v[8:11], v22 offset:20736
	buffer_load_dword v31, off, s[28:31], 0 offset:52 ; 4-byte Folded Reload
	buffer_load_dword v32, off, s[28:31], 0 offset:56 ; 4-byte Folded Reload
	buffer_load_dword v33, off, s[28:31], 0 offset:60 ; 4-byte Folded Reload
	buffer_load_dword v34, off, s[28:31], 0 offset:64 ; 4-byte Folded Reload
	buffer_load_dword v30, off, s[28:31], 0 offset:16 ; 4-byte Folded Reload
	v_addc_co_u32_e32 v13, vcc, v13, v29, vcc
	s_waitcnt vmcnt(1) lgkmcnt(1)
	v_mul_f64 v[14:15], v[33:34], v[6:7]
	v_mul_f64 v[16:17], v[33:34], v[4:5]
	buffer_load_dword v33, off, s[28:31], 0 offset:100 ; 4-byte Folded Reload
	buffer_load_dword v34, off, s[28:31], 0 offset:104 ; 4-byte Folded Reload
	;; [unrolled: 1-line block ×4, first 2 shown]
	s_waitcnt vmcnt(4)
	v_mad_u64_u32 v[18:19], s[6:7], s8, v30, 0
	global_store_dwordx4 v[12:13], v[0:3], off
	v_fma_f64 v[4:5], v[31:32], v[4:5], v[14:15]
	v_fma_f64 v[6:7], v[31:32], v[6:7], -v[16:17]
	v_mov_b32_e32 v14, v19
	v_mad_u64_u32 v[14:15], s[6:7], s9, v30, v[14:15]
	v_mov_b32_e32 v0, 0x1200
	v_mad_u64_u32 v[0:1], s[6:7], s8, v0, v[12:13]
	v_mul_f64 v[2:3], v[4:5], s[2:3]
	v_mul_f64 v[4:5], v[6:7], s[2:3]
	v_mov_b32_e32 v19, v14
	v_lshlrev_b64 v[14:15], 4, v[18:19]
	s_mul_i32 s6, s9, 0x1200
	v_add_u32_e32 v1, s6, v1
	s_waitcnt vmcnt(1) lgkmcnt(0)
	v_mul_f64 v[23:24], v[35:36], v[10:11]
	v_mul_f64 v[25:26], v[35:36], v[8:9]
	v_fma_f64 v[8:9], v[33:34], v[8:9], v[23:24]
	v_fma_f64 v[10:11], v[33:34], v[10:11], -v[25:26]
	v_mul_f64 v[6:7], v[8:9], s[2:3]
	v_mul_f64 v[8:9], v[10:11], s[2:3]
	v_add_co_u32_e32 v10, vcc, v27, v14
	v_addc_co_u32_e32 v11, vcc, v28, v15, vcc
	global_store_dwordx4 v[10:11], v[2:5], off
	global_store_dwordx4 v[0:1], v[6:9], off
	s_and_b64 exec, exec, s[0:1]
	s_cbranch_execz .LBB0_31
; %bb.30:
	global_load_dwordx4 v[2:5], v[20:21], off offset:1440
	ds_read_b128 v[6:9], v22 offset:1440
	ds_read_b128 v[10:13], v22 offset:3744
	v_mov_b32_e32 v16, s5
	s_waitcnt vmcnt(0) lgkmcnt(1)
	v_mul_f64 v[14:15], v[8:9], v[4:5]
	v_mul_f64 v[4:5], v[6:7], v[4:5]
	v_fma_f64 v[6:7], v[6:7], v[2:3], v[14:15]
	v_fma_f64 v[4:5], v[2:3], v[8:9], -v[4:5]
	v_mul_f64 v[2:3], v[6:7], s[2:3]
	v_mul_f64 v[4:5], v[4:5], s[2:3]
	v_mov_b32_e32 v6, 0xffffb4a0
	v_mad_u64_u32 v[6:7], s[0:1], s8, v6, v[0:1]
	s_mul_i32 s0, s9, 0xffffb4a0
	s_sub_i32 s0, s0, s8
	v_add_u32_e32 v7, s0, v7
	s_movk_i32 s0, 0x1000
	global_store_dwordx4 v[6:7], v[2:5], off
	global_load_dwordx4 v[0:3], v[20:21], off offset:3744
	s_waitcnt vmcnt(0) lgkmcnt(0)
	v_mul_f64 v[4:5], v[12:13], v[2:3]
	v_mul_f64 v[2:3], v[10:11], v[2:3]
	v_fma_f64 v[4:5], v[10:11], v[0:1], v[4:5]
	v_fma_f64 v[2:3], v[0:1], v[12:13], -v[2:3]
	v_mul_f64 v[0:1], v[4:5], s[2:3]
	v_mul_f64 v[2:3], v[2:3], s[2:3]
	v_add_co_u32_e32 v4, vcc, s0, v20
	v_addc_co_u32_e32 v5, vcc, 0, v21, vcc
	v_add_co_u32_e32 v12, vcc, s4, v6
	v_addc_co_u32_e32 v13, vcc, v7, v16, vcc
	global_store_dwordx4 v[12:13], v[0:3], off
	global_load_dwordx4 v[0:3], v[4:5], off offset:1952
	ds_read_b128 v[4:7], v22 offset:6048
	ds_read_b128 v[8:11], v22 offset:8352
	s_movk_i32 s0, 0x2000
	s_waitcnt vmcnt(0) lgkmcnt(1)
	v_mul_f64 v[14:15], v[6:7], v[2:3]
	v_mul_f64 v[2:3], v[4:5], v[2:3]
	v_fma_f64 v[4:5], v[4:5], v[0:1], v[14:15]
	v_fma_f64 v[2:3], v[0:1], v[6:7], -v[2:3]
	v_mul_f64 v[0:1], v[4:5], s[2:3]
	v_mul_f64 v[2:3], v[2:3], s[2:3]
	v_add_co_u32_e32 v4, vcc, s0, v20
	v_addc_co_u32_e32 v5, vcc, 0, v21, vcc
	v_add_co_u32_e32 v6, vcc, s4, v12
	v_addc_co_u32_e32 v7, vcc, v13, v16, vcc
	global_store_dwordx4 v[6:7], v[0:3], off
	global_load_dwordx4 v[0:3], v[4:5], off offset:160
	s_movk_i32 s0, 0x3000
	s_waitcnt vmcnt(0) lgkmcnt(0)
	v_mul_f64 v[12:13], v[10:11], v[2:3]
	v_mul_f64 v[2:3], v[8:9], v[2:3]
	v_fma_f64 v[8:9], v[8:9], v[0:1], v[12:13]
	v_fma_f64 v[2:3], v[0:1], v[10:11], -v[2:3]
	v_add_co_u32_e32 v12, vcc, s4, v6
	v_addc_co_u32_e32 v13, vcc, v7, v16, vcc
	v_mul_f64 v[0:1], v[8:9], s[2:3]
	v_mul_f64 v[2:3], v[2:3], s[2:3]
	global_store_dwordx4 v[12:13], v[0:3], off
	global_load_dwordx4 v[0:3], v[4:5], off offset:2464
	ds_read_b128 v[4:7], v22 offset:10656
	ds_read_b128 v[8:11], v22 offset:12960
	s_waitcnt vmcnt(0) lgkmcnt(1)
	v_mul_f64 v[14:15], v[6:7], v[2:3]
	v_mul_f64 v[2:3], v[4:5], v[2:3]
	v_fma_f64 v[4:5], v[4:5], v[0:1], v[14:15]
	v_fma_f64 v[2:3], v[0:1], v[6:7], -v[2:3]
	v_mul_f64 v[0:1], v[4:5], s[2:3]
	v_mul_f64 v[2:3], v[2:3], s[2:3]
	v_add_co_u32_e32 v4, vcc, s0, v20
	v_addc_co_u32_e32 v5, vcc, 0, v21, vcc
	v_add_co_u32_e32 v6, vcc, s4, v12
	v_addc_co_u32_e32 v7, vcc, v13, v16, vcc
	global_store_dwordx4 v[6:7], v[0:3], off
	global_load_dwordx4 v[0:3], v[4:5], off offset:672
	s_movk_i32 s0, 0x4000
	s_waitcnt vmcnt(0) lgkmcnt(0)
	v_mul_f64 v[12:13], v[10:11], v[2:3]
	v_mul_f64 v[2:3], v[8:9], v[2:3]
	v_fma_f64 v[8:9], v[8:9], v[0:1], v[12:13]
	v_fma_f64 v[2:3], v[0:1], v[10:11], -v[2:3]
	v_add_co_u32_e32 v12, vcc, s4, v6
	v_addc_co_u32_e32 v13, vcc, v7, v16, vcc
	v_mul_f64 v[0:1], v[8:9], s[2:3]
	v_mul_f64 v[2:3], v[2:3], s[2:3]
	global_store_dwordx4 v[12:13], v[0:3], off
	global_load_dwordx4 v[0:3], v[4:5], off offset:2976
	ds_read_b128 v[4:7], v22 offset:15264
	ds_read_b128 v[8:11], v22 offset:17568
	;; [unrolled: 27-line block ×3, first 2 shown]
	s_waitcnt vmcnt(0) lgkmcnt(1)
	v_mul_f64 v[14:15], v[6:7], v[2:3]
	v_mul_f64 v[2:3], v[4:5], v[2:3]
	v_fma_f64 v[4:5], v[4:5], v[0:1], v[14:15]
	v_fma_f64 v[2:3], v[0:1], v[6:7], -v[2:3]
	v_mul_f64 v[0:1], v[4:5], s[2:3]
	v_mul_f64 v[2:3], v[2:3], s[2:3]
	v_add_co_u32_e32 v4, vcc, s0, v20
	v_addc_co_u32_e32 v5, vcc, 0, v21, vcc
	v_add_co_u32_e32 v6, vcc, s4, v12
	v_addc_co_u32_e32 v7, vcc, v13, v16, vcc
	global_store_dwordx4 v[6:7], v[0:3], off
	global_load_dwordx4 v[0:3], v[4:5], off offset:1696
	s_waitcnt vmcnt(0) lgkmcnt(0)
	v_mul_f64 v[4:5], v[10:11], v[2:3]
	v_mul_f64 v[2:3], v[8:9], v[2:3]
	v_fma_f64 v[4:5], v[8:9], v[0:1], v[4:5]
	v_fma_f64 v[2:3], v[0:1], v[10:11], -v[2:3]
	v_mul_f64 v[0:1], v[4:5], s[2:3]
	v_mul_f64 v[2:3], v[2:3], s[2:3]
	v_add_co_u32_e32 v4, vcc, s4, v6
	v_addc_co_u32_e32 v5, vcc, v7, v16, vcc
	global_store_dwordx4 v[4:5], v[0:3], off
.LBB0_31:
	s_endpgm
	.section	.rodata,"a",@progbits
	.p2align	6, 0x0
	.amdhsa_kernel bluestein_single_back_len1440_dim1_dp_op_CI_CI
		.amdhsa_group_segment_fixed_size 23040
		.amdhsa_private_segment_fixed_size 456
		.amdhsa_kernarg_size 104
		.amdhsa_user_sgpr_count 6
		.amdhsa_user_sgpr_private_segment_buffer 1
		.amdhsa_user_sgpr_dispatch_ptr 0
		.amdhsa_user_sgpr_queue_ptr 0
		.amdhsa_user_sgpr_kernarg_segment_ptr 1
		.amdhsa_user_sgpr_dispatch_id 0
		.amdhsa_user_sgpr_flat_scratch_init 0
		.amdhsa_user_sgpr_private_segment_size 0
		.amdhsa_uses_dynamic_stack 0
		.amdhsa_system_sgpr_private_segment_wavefront_offset 1
		.amdhsa_system_sgpr_workgroup_id_x 1
		.amdhsa_system_sgpr_workgroup_id_y 0
		.amdhsa_system_sgpr_workgroup_id_z 0
		.amdhsa_system_sgpr_workgroup_info 0
		.amdhsa_system_vgpr_workitem_id 0
		.amdhsa_next_free_vgpr 256
		.amdhsa_next_free_sgpr 32
		.amdhsa_reserve_vcc 1
		.amdhsa_reserve_flat_scratch 0
		.amdhsa_float_round_mode_32 0
		.amdhsa_float_round_mode_16_64 0
		.amdhsa_float_denorm_mode_32 3
		.amdhsa_float_denorm_mode_16_64 3
		.amdhsa_dx10_clamp 1
		.amdhsa_ieee_mode 1
		.amdhsa_fp16_overflow 0
		.amdhsa_exception_fp_ieee_invalid_op 0
		.amdhsa_exception_fp_denorm_src 0
		.amdhsa_exception_fp_ieee_div_zero 0
		.amdhsa_exception_fp_ieee_overflow 0
		.amdhsa_exception_fp_ieee_underflow 0
		.amdhsa_exception_fp_ieee_inexact 0
		.amdhsa_exception_int_div_zero 0
	.end_amdhsa_kernel
	.text
.Lfunc_end0:
	.size	bluestein_single_back_len1440_dim1_dp_op_CI_CI, .Lfunc_end0-bluestein_single_back_len1440_dim1_dp_op_CI_CI
                                        ; -- End function
	.section	.AMDGPU.csdata,"",@progbits
; Kernel info:
; codeLenInByte = 23748
; NumSgprs: 36
; NumVgprs: 256
; ScratchSize: 456
; MemoryBound: 0
; FloatMode: 240
; IeeeMode: 1
; LDSByteSize: 23040 bytes/workgroup (compile time only)
; SGPRBlocks: 4
; VGPRBlocks: 63
; NumSGPRsForWavesPerEU: 36
; NumVGPRsForWavesPerEU: 256
; Occupancy: 1
; WaveLimiterHint : 1
; COMPUTE_PGM_RSRC2:SCRATCH_EN: 1
; COMPUTE_PGM_RSRC2:USER_SGPR: 6
; COMPUTE_PGM_RSRC2:TRAP_HANDLER: 0
; COMPUTE_PGM_RSRC2:TGID_X_EN: 1
; COMPUTE_PGM_RSRC2:TGID_Y_EN: 0
; COMPUTE_PGM_RSRC2:TGID_Z_EN: 0
; COMPUTE_PGM_RSRC2:TIDIG_COMP_CNT: 0
	.type	__hip_cuid_cfe4b4036478dab7,@object ; @__hip_cuid_cfe4b4036478dab7
	.section	.bss,"aw",@nobits
	.globl	__hip_cuid_cfe4b4036478dab7
__hip_cuid_cfe4b4036478dab7:
	.byte	0                               ; 0x0
	.size	__hip_cuid_cfe4b4036478dab7, 1

	.ident	"AMD clang version 19.0.0git (https://github.com/RadeonOpenCompute/llvm-project roc-6.4.0 25133 c7fe45cf4b819c5991fe208aaa96edf142730f1d)"
	.section	".note.GNU-stack","",@progbits
	.addrsig
	.addrsig_sym __hip_cuid_cfe4b4036478dab7
	.amdgpu_metadata
---
amdhsa.kernels:
  - .args:
      - .actual_access:  read_only
        .address_space:  global
        .offset:         0
        .size:           8
        .value_kind:     global_buffer
      - .actual_access:  read_only
        .address_space:  global
        .offset:         8
        .size:           8
        .value_kind:     global_buffer
      - .actual_access:  read_only
        .address_space:  global
        .offset:         16
        .size:           8
        .value_kind:     global_buffer
      - .actual_access:  read_only
        .address_space:  global
        .offset:         24
        .size:           8
        .value_kind:     global_buffer
      - .actual_access:  read_only
        .address_space:  global
        .offset:         32
        .size:           8
        .value_kind:     global_buffer
      - .offset:         40
        .size:           8
        .value_kind:     by_value
      - .address_space:  global
        .offset:         48
        .size:           8
        .value_kind:     global_buffer
      - .address_space:  global
        .offset:         56
        .size:           8
        .value_kind:     global_buffer
      - .address_space:  global
        .offset:         64
        .size:           8
        .value_kind:     global_buffer
      - .address_space:  global
        .offset:         72
        .size:           8
        .value_kind:     global_buffer
      - .offset:         80
        .size:           4
        .value_kind:     by_value
      - .address_space:  global
        .offset:         88
        .size:           8
        .value_kind:     global_buffer
      - .address_space:  global
        .offset:         96
        .size:           8
        .value_kind:     global_buffer
    .group_segment_fixed_size: 23040
    .kernarg_segment_align: 8
    .kernarg_segment_size: 104
    .language:       OpenCL C
    .language_version:
      - 2
      - 0
    .max_flat_workgroup_size: 90
    .name:           bluestein_single_back_len1440_dim1_dp_op_CI_CI
    .private_segment_fixed_size: 456
    .sgpr_count:     36
    .sgpr_spill_count: 0
    .symbol:         bluestein_single_back_len1440_dim1_dp_op_CI_CI.kd
    .uniform_work_group_size: 1
    .uses_dynamic_stack: false
    .vgpr_count:     256
    .vgpr_spill_count: 113
    .wavefront_size: 64
amdhsa.target:   amdgcn-amd-amdhsa--gfx906
amdhsa.version:
  - 1
  - 2
...

	.end_amdgpu_metadata
